;; amdgpu-corpus repo=ROCm/rocThrust kind=compiled arch=gfx1030 opt=O3
	.amdgcn_target "amdgcn-amd-amdhsa--gfx1030"
	.amdhsa_code_object_version 6
	.section	.text._ZN7rocprim17ROCPRIM_400000_NS6detail17trampoline_kernelINS0_14default_configENS1_22reduce_config_selectorI18summary_stats_dataIfEEEZNS1_11reduce_implILb1ES3_PS6_S9_S6_23summary_stats_binary_opIfEEE10hipError_tPvRmT1_T2_T3_mT4_P12ihipStream_tbEUlT_E0_NS1_11comp_targetILNS1_3genE0ELNS1_11target_archE4294967295ELNS1_3gpuE0ELNS1_3repE0EEENS1_30default_config_static_selectorELNS0_4arch9wavefront6targetE0EEEvSF_,"axG",@progbits,_ZN7rocprim17ROCPRIM_400000_NS6detail17trampoline_kernelINS0_14default_configENS1_22reduce_config_selectorI18summary_stats_dataIfEEEZNS1_11reduce_implILb1ES3_PS6_S9_S6_23summary_stats_binary_opIfEEE10hipError_tPvRmT1_T2_T3_mT4_P12ihipStream_tbEUlT_E0_NS1_11comp_targetILNS1_3genE0ELNS1_11target_archE4294967295ELNS1_3gpuE0ELNS1_3repE0EEENS1_30default_config_static_selectorELNS0_4arch9wavefront6targetE0EEEvSF_,comdat
	.protected	_ZN7rocprim17ROCPRIM_400000_NS6detail17trampoline_kernelINS0_14default_configENS1_22reduce_config_selectorI18summary_stats_dataIfEEEZNS1_11reduce_implILb1ES3_PS6_S9_S6_23summary_stats_binary_opIfEEE10hipError_tPvRmT1_T2_T3_mT4_P12ihipStream_tbEUlT_E0_NS1_11comp_targetILNS1_3genE0ELNS1_11target_archE4294967295ELNS1_3gpuE0ELNS1_3repE0EEENS1_30default_config_static_selectorELNS0_4arch9wavefront6targetE0EEEvSF_ ; -- Begin function _ZN7rocprim17ROCPRIM_400000_NS6detail17trampoline_kernelINS0_14default_configENS1_22reduce_config_selectorI18summary_stats_dataIfEEEZNS1_11reduce_implILb1ES3_PS6_S9_S6_23summary_stats_binary_opIfEEE10hipError_tPvRmT1_T2_T3_mT4_P12ihipStream_tbEUlT_E0_NS1_11comp_targetILNS1_3genE0ELNS1_11target_archE4294967295ELNS1_3gpuE0ELNS1_3repE0EEENS1_30default_config_static_selectorELNS0_4arch9wavefront6targetE0EEEvSF_
	.globl	_ZN7rocprim17ROCPRIM_400000_NS6detail17trampoline_kernelINS0_14default_configENS1_22reduce_config_selectorI18summary_stats_dataIfEEEZNS1_11reduce_implILb1ES3_PS6_S9_S6_23summary_stats_binary_opIfEEE10hipError_tPvRmT1_T2_T3_mT4_P12ihipStream_tbEUlT_E0_NS1_11comp_targetILNS1_3genE0ELNS1_11target_archE4294967295ELNS1_3gpuE0ELNS1_3repE0EEENS1_30default_config_static_selectorELNS0_4arch9wavefront6targetE0EEEvSF_
	.p2align	8
	.type	_ZN7rocprim17ROCPRIM_400000_NS6detail17trampoline_kernelINS0_14default_configENS1_22reduce_config_selectorI18summary_stats_dataIfEEEZNS1_11reduce_implILb1ES3_PS6_S9_S6_23summary_stats_binary_opIfEEE10hipError_tPvRmT1_T2_T3_mT4_P12ihipStream_tbEUlT_E0_NS1_11comp_targetILNS1_3genE0ELNS1_11target_archE4294967295ELNS1_3gpuE0ELNS1_3repE0EEENS1_30default_config_static_selectorELNS0_4arch9wavefront6targetE0EEEvSF_,@function
_ZN7rocprim17ROCPRIM_400000_NS6detail17trampoline_kernelINS0_14default_configENS1_22reduce_config_selectorI18summary_stats_dataIfEEEZNS1_11reduce_implILb1ES3_PS6_S9_S6_23summary_stats_binary_opIfEEE10hipError_tPvRmT1_T2_T3_mT4_P12ihipStream_tbEUlT_E0_NS1_11comp_targetILNS1_3genE0ELNS1_11target_archE4294967295ELNS1_3gpuE0ELNS1_3repE0EEENS1_30default_config_static_selectorELNS0_4arch9wavefront6targetE0EEEvSF_: ; @_ZN7rocprim17ROCPRIM_400000_NS6detail17trampoline_kernelINS0_14default_configENS1_22reduce_config_selectorI18summary_stats_dataIfEEEZNS1_11reduce_implILb1ES3_PS6_S9_S6_23summary_stats_binary_opIfEEE10hipError_tPvRmT1_T2_T3_mT4_P12ihipStream_tbEUlT_E0_NS1_11comp_targetILNS1_3genE0ELNS1_11target_archE4294967295ELNS1_3gpuE0ELNS1_3repE0EEENS1_30default_config_static_selectorELNS0_4arch9wavefront6targetE0EEEvSF_
; %bb.0:
	.section	.rodata,"a",@progbits
	.p2align	6, 0x0
	.amdhsa_kernel _ZN7rocprim17ROCPRIM_400000_NS6detail17trampoline_kernelINS0_14default_configENS1_22reduce_config_selectorI18summary_stats_dataIfEEEZNS1_11reduce_implILb1ES3_PS6_S9_S6_23summary_stats_binary_opIfEEE10hipError_tPvRmT1_T2_T3_mT4_P12ihipStream_tbEUlT_E0_NS1_11comp_targetILNS1_3genE0ELNS1_11target_archE4294967295ELNS1_3gpuE0ELNS1_3repE0EEENS1_30default_config_static_selectorELNS0_4arch9wavefront6targetE0EEEvSF_
		.amdhsa_group_segment_fixed_size 0
		.amdhsa_private_segment_fixed_size 0
		.amdhsa_kernarg_size 80
		.amdhsa_user_sgpr_count 6
		.amdhsa_user_sgpr_private_segment_buffer 1
		.amdhsa_user_sgpr_dispatch_ptr 0
		.amdhsa_user_sgpr_queue_ptr 0
		.amdhsa_user_sgpr_kernarg_segment_ptr 1
		.amdhsa_user_sgpr_dispatch_id 0
		.amdhsa_user_sgpr_flat_scratch_init 0
		.amdhsa_user_sgpr_private_segment_size 0
		.amdhsa_wavefront_size32 1
		.amdhsa_uses_dynamic_stack 0
		.amdhsa_system_sgpr_private_segment_wavefront_offset 0
		.amdhsa_system_sgpr_workgroup_id_x 1
		.amdhsa_system_sgpr_workgroup_id_y 0
		.amdhsa_system_sgpr_workgroup_id_z 0
		.amdhsa_system_sgpr_workgroup_info 0
		.amdhsa_system_vgpr_workitem_id 0
		.amdhsa_next_free_vgpr 1
		.amdhsa_next_free_sgpr 1
		.amdhsa_reserve_vcc 0
		.amdhsa_reserve_flat_scratch 0
		.amdhsa_float_round_mode_32 0
		.amdhsa_float_round_mode_16_64 0
		.amdhsa_float_denorm_mode_32 3
		.amdhsa_float_denorm_mode_16_64 3
		.amdhsa_dx10_clamp 1
		.amdhsa_ieee_mode 1
		.amdhsa_fp16_overflow 0
		.amdhsa_workgroup_processor_mode 1
		.amdhsa_memory_ordered 1
		.amdhsa_forward_progress 1
		.amdhsa_shared_vgpr_count 0
		.amdhsa_exception_fp_ieee_invalid_op 0
		.amdhsa_exception_fp_denorm_src 0
		.amdhsa_exception_fp_ieee_div_zero 0
		.amdhsa_exception_fp_ieee_overflow 0
		.amdhsa_exception_fp_ieee_underflow 0
		.amdhsa_exception_fp_ieee_inexact 0
		.amdhsa_exception_int_div_zero 0
	.end_amdhsa_kernel
	.section	.text._ZN7rocprim17ROCPRIM_400000_NS6detail17trampoline_kernelINS0_14default_configENS1_22reduce_config_selectorI18summary_stats_dataIfEEEZNS1_11reduce_implILb1ES3_PS6_S9_S6_23summary_stats_binary_opIfEEE10hipError_tPvRmT1_T2_T3_mT4_P12ihipStream_tbEUlT_E0_NS1_11comp_targetILNS1_3genE0ELNS1_11target_archE4294967295ELNS1_3gpuE0ELNS1_3repE0EEENS1_30default_config_static_selectorELNS0_4arch9wavefront6targetE0EEEvSF_,"axG",@progbits,_ZN7rocprim17ROCPRIM_400000_NS6detail17trampoline_kernelINS0_14default_configENS1_22reduce_config_selectorI18summary_stats_dataIfEEEZNS1_11reduce_implILb1ES3_PS6_S9_S6_23summary_stats_binary_opIfEEE10hipError_tPvRmT1_T2_T3_mT4_P12ihipStream_tbEUlT_E0_NS1_11comp_targetILNS1_3genE0ELNS1_11target_archE4294967295ELNS1_3gpuE0ELNS1_3repE0EEENS1_30default_config_static_selectorELNS0_4arch9wavefront6targetE0EEEvSF_,comdat
.Lfunc_end0:
	.size	_ZN7rocprim17ROCPRIM_400000_NS6detail17trampoline_kernelINS0_14default_configENS1_22reduce_config_selectorI18summary_stats_dataIfEEEZNS1_11reduce_implILb1ES3_PS6_S9_S6_23summary_stats_binary_opIfEEE10hipError_tPvRmT1_T2_T3_mT4_P12ihipStream_tbEUlT_E0_NS1_11comp_targetILNS1_3genE0ELNS1_11target_archE4294967295ELNS1_3gpuE0ELNS1_3repE0EEENS1_30default_config_static_selectorELNS0_4arch9wavefront6targetE0EEEvSF_, .Lfunc_end0-_ZN7rocprim17ROCPRIM_400000_NS6detail17trampoline_kernelINS0_14default_configENS1_22reduce_config_selectorI18summary_stats_dataIfEEEZNS1_11reduce_implILb1ES3_PS6_S9_S6_23summary_stats_binary_opIfEEE10hipError_tPvRmT1_T2_T3_mT4_P12ihipStream_tbEUlT_E0_NS1_11comp_targetILNS1_3genE0ELNS1_11target_archE4294967295ELNS1_3gpuE0ELNS1_3repE0EEENS1_30default_config_static_selectorELNS0_4arch9wavefront6targetE0EEEvSF_
                                        ; -- End function
	.set _ZN7rocprim17ROCPRIM_400000_NS6detail17trampoline_kernelINS0_14default_configENS1_22reduce_config_selectorI18summary_stats_dataIfEEEZNS1_11reduce_implILb1ES3_PS6_S9_S6_23summary_stats_binary_opIfEEE10hipError_tPvRmT1_T2_T3_mT4_P12ihipStream_tbEUlT_E0_NS1_11comp_targetILNS1_3genE0ELNS1_11target_archE4294967295ELNS1_3gpuE0ELNS1_3repE0EEENS1_30default_config_static_selectorELNS0_4arch9wavefront6targetE0EEEvSF_.num_vgpr, 0
	.set _ZN7rocprim17ROCPRIM_400000_NS6detail17trampoline_kernelINS0_14default_configENS1_22reduce_config_selectorI18summary_stats_dataIfEEEZNS1_11reduce_implILb1ES3_PS6_S9_S6_23summary_stats_binary_opIfEEE10hipError_tPvRmT1_T2_T3_mT4_P12ihipStream_tbEUlT_E0_NS1_11comp_targetILNS1_3genE0ELNS1_11target_archE4294967295ELNS1_3gpuE0ELNS1_3repE0EEENS1_30default_config_static_selectorELNS0_4arch9wavefront6targetE0EEEvSF_.num_agpr, 0
	.set _ZN7rocprim17ROCPRIM_400000_NS6detail17trampoline_kernelINS0_14default_configENS1_22reduce_config_selectorI18summary_stats_dataIfEEEZNS1_11reduce_implILb1ES3_PS6_S9_S6_23summary_stats_binary_opIfEEE10hipError_tPvRmT1_T2_T3_mT4_P12ihipStream_tbEUlT_E0_NS1_11comp_targetILNS1_3genE0ELNS1_11target_archE4294967295ELNS1_3gpuE0ELNS1_3repE0EEENS1_30default_config_static_selectorELNS0_4arch9wavefront6targetE0EEEvSF_.numbered_sgpr, 0
	.set _ZN7rocprim17ROCPRIM_400000_NS6detail17trampoline_kernelINS0_14default_configENS1_22reduce_config_selectorI18summary_stats_dataIfEEEZNS1_11reduce_implILb1ES3_PS6_S9_S6_23summary_stats_binary_opIfEEE10hipError_tPvRmT1_T2_T3_mT4_P12ihipStream_tbEUlT_E0_NS1_11comp_targetILNS1_3genE0ELNS1_11target_archE4294967295ELNS1_3gpuE0ELNS1_3repE0EEENS1_30default_config_static_selectorELNS0_4arch9wavefront6targetE0EEEvSF_.num_named_barrier, 0
	.set _ZN7rocprim17ROCPRIM_400000_NS6detail17trampoline_kernelINS0_14default_configENS1_22reduce_config_selectorI18summary_stats_dataIfEEEZNS1_11reduce_implILb1ES3_PS6_S9_S6_23summary_stats_binary_opIfEEE10hipError_tPvRmT1_T2_T3_mT4_P12ihipStream_tbEUlT_E0_NS1_11comp_targetILNS1_3genE0ELNS1_11target_archE4294967295ELNS1_3gpuE0ELNS1_3repE0EEENS1_30default_config_static_selectorELNS0_4arch9wavefront6targetE0EEEvSF_.private_seg_size, 0
	.set _ZN7rocprim17ROCPRIM_400000_NS6detail17trampoline_kernelINS0_14default_configENS1_22reduce_config_selectorI18summary_stats_dataIfEEEZNS1_11reduce_implILb1ES3_PS6_S9_S6_23summary_stats_binary_opIfEEE10hipError_tPvRmT1_T2_T3_mT4_P12ihipStream_tbEUlT_E0_NS1_11comp_targetILNS1_3genE0ELNS1_11target_archE4294967295ELNS1_3gpuE0ELNS1_3repE0EEENS1_30default_config_static_selectorELNS0_4arch9wavefront6targetE0EEEvSF_.uses_vcc, 0
	.set _ZN7rocprim17ROCPRIM_400000_NS6detail17trampoline_kernelINS0_14default_configENS1_22reduce_config_selectorI18summary_stats_dataIfEEEZNS1_11reduce_implILb1ES3_PS6_S9_S6_23summary_stats_binary_opIfEEE10hipError_tPvRmT1_T2_T3_mT4_P12ihipStream_tbEUlT_E0_NS1_11comp_targetILNS1_3genE0ELNS1_11target_archE4294967295ELNS1_3gpuE0ELNS1_3repE0EEENS1_30default_config_static_selectorELNS0_4arch9wavefront6targetE0EEEvSF_.uses_flat_scratch, 0
	.set _ZN7rocprim17ROCPRIM_400000_NS6detail17trampoline_kernelINS0_14default_configENS1_22reduce_config_selectorI18summary_stats_dataIfEEEZNS1_11reduce_implILb1ES3_PS6_S9_S6_23summary_stats_binary_opIfEEE10hipError_tPvRmT1_T2_T3_mT4_P12ihipStream_tbEUlT_E0_NS1_11comp_targetILNS1_3genE0ELNS1_11target_archE4294967295ELNS1_3gpuE0ELNS1_3repE0EEENS1_30default_config_static_selectorELNS0_4arch9wavefront6targetE0EEEvSF_.has_dyn_sized_stack, 0
	.set _ZN7rocprim17ROCPRIM_400000_NS6detail17trampoline_kernelINS0_14default_configENS1_22reduce_config_selectorI18summary_stats_dataIfEEEZNS1_11reduce_implILb1ES3_PS6_S9_S6_23summary_stats_binary_opIfEEE10hipError_tPvRmT1_T2_T3_mT4_P12ihipStream_tbEUlT_E0_NS1_11comp_targetILNS1_3genE0ELNS1_11target_archE4294967295ELNS1_3gpuE0ELNS1_3repE0EEENS1_30default_config_static_selectorELNS0_4arch9wavefront6targetE0EEEvSF_.has_recursion, 0
	.set _ZN7rocprim17ROCPRIM_400000_NS6detail17trampoline_kernelINS0_14default_configENS1_22reduce_config_selectorI18summary_stats_dataIfEEEZNS1_11reduce_implILb1ES3_PS6_S9_S6_23summary_stats_binary_opIfEEE10hipError_tPvRmT1_T2_T3_mT4_P12ihipStream_tbEUlT_E0_NS1_11comp_targetILNS1_3genE0ELNS1_11target_archE4294967295ELNS1_3gpuE0ELNS1_3repE0EEENS1_30default_config_static_selectorELNS0_4arch9wavefront6targetE0EEEvSF_.has_indirect_call, 0
	.section	.AMDGPU.csdata,"",@progbits
; Kernel info:
; codeLenInByte = 0
; TotalNumSgprs: 0
; NumVgprs: 0
; ScratchSize: 0
; MemoryBound: 0
; FloatMode: 240
; IeeeMode: 1
; LDSByteSize: 0 bytes/workgroup (compile time only)
; SGPRBlocks: 0
; VGPRBlocks: 0
; NumSGPRsForWavesPerEU: 1
; NumVGPRsForWavesPerEU: 1
; Occupancy: 16
; WaveLimiterHint : 0
; COMPUTE_PGM_RSRC2:SCRATCH_EN: 0
; COMPUTE_PGM_RSRC2:USER_SGPR: 6
; COMPUTE_PGM_RSRC2:TRAP_HANDLER: 0
; COMPUTE_PGM_RSRC2:TGID_X_EN: 1
; COMPUTE_PGM_RSRC2:TGID_Y_EN: 0
; COMPUTE_PGM_RSRC2:TGID_Z_EN: 0
; COMPUTE_PGM_RSRC2:TIDIG_COMP_CNT: 0
	.section	.text._ZN7rocprim17ROCPRIM_400000_NS6detail17trampoline_kernelINS0_14default_configENS1_22reduce_config_selectorI18summary_stats_dataIfEEEZNS1_11reduce_implILb1ES3_PS6_S9_S6_23summary_stats_binary_opIfEEE10hipError_tPvRmT1_T2_T3_mT4_P12ihipStream_tbEUlT_E0_NS1_11comp_targetILNS1_3genE5ELNS1_11target_archE942ELNS1_3gpuE9ELNS1_3repE0EEENS1_30default_config_static_selectorELNS0_4arch9wavefront6targetE0EEEvSF_,"axG",@progbits,_ZN7rocprim17ROCPRIM_400000_NS6detail17trampoline_kernelINS0_14default_configENS1_22reduce_config_selectorI18summary_stats_dataIfEEEZNS1_11reduce_implILb1ES3_PS6_S9_S6_23summary_stats_binary_opIfEEE10hipError_tPvRmT1_T2_T3_mT4_P12ihipStream_tbEUlT_E0_NS1_11comp_targetILNS1_3genE5ELNS1_11target_archE942ELNS1_3gpuE9ELNS1_3repE0EEENS1_30default_config_static_selectorELNS0_4arch9wavefront6targetE0EEEvSF_,comdat
	.protected	_ZN7rocprim17ROCPRIM_400000_NS6detail17trampoline_kernelINS0_14default_configENS1_22reduce_config_selectorI18summary_stats_dataIfEEEZNS1_11reduce_implILb1ES3_PS6_S9_S6_23summary_stats_binary_opIfEEE10hipError_tPvRmT1_T2_T3_mT4_P12ihipStream_tbEUlT_E0_NS1_11comp_targetILNS1_3genE5ELNS1_11target_archE942ELNS1_3gpuE9ELNS1_3repE0EEENS1_30default_config_static_selectorELNS0_4arch9wavefront6targetE0EEEvSF_ ; -- Begin function _ZN7rocprim17ROCPRIM_400000_NS6detail17trampoline_kernelINS0_14default_configENS1_22reduce_config_selectorI18summary_stats_dataIfEEEZNS1_11reduce_implILb1ES3_PS6_S9_S6_23summary_stats_binary_opIfEEE10hipError_tPvRmT1_T2_T3_mT4_P12ihipStream_tbEUlT_E0_NS1_11comp_targetILNS1_3genE5ELNS1_11target_archE942ELNS1_3gpuE9ELNS1_3repE0EEENS1_30default_config_static_selectorELNS0_4arch9wavefront6targetE0EEEvSF_
	.globl	_ZN7rocprim17ROCPRIM_400000_NS6detail17trampoline_kernelINS0_14default_configENS1_22reduce_config_selectorI18summary_stats_dataIfEEEZNS1_11reduce_implILb1ES3_PS6_S9_S6_23summary_stats_binary_opIfEEE10hipError_tPvRmT1_T2_T3_mT4_P12ihipStream_tbEUlT_E0_NS1_11comp_targetILNS1_3genE5ELNS1_11target_archE942ELNS1_3gpuE9ELNS1_3repE0EEENS1_30default_config_static_selectorELNS0_4arch9wavefront6targetE0EEEvSF_
	.p2align	8
	.type	_ZN7rocprim17ROCPRIM_400000_NS6detail17trampoline_kernelINS0_14default_configENS1_22reduce_config_selectorI18summary_stats_dataIfEEEZNS1_11reduce_implILb1ES3_PS6_S9_S6_23summary_stats_binary_opIfEEE10hipError_tPvRmT1_T2_T3_mT4_P12ihipStream_tbEUlT_E0_NS1_11comp_targetILNS1_3genE5ELNS1_11target_archE942ELNS1_3gpuE9ELNS1_3repE0EEENS1_30default_config_static_selectorELNS0_4arch9wavefront6targetE0EEEvSF_,@function
_ZN7rocprim17ROCPRIM_400000_NS6detail17trampoline_kernelINS0_14default_configENS1_22reduce_config_selectorI18summary_stats_dataIfEEEZNS1_11reduce_implILb1ES3_PS6_S9_S6_23summary_stats_binary_opIfEEE10hipError_tPvRmT1_T2_T3_mT4_P12ihipStream_tbEUlT_E0_NS1_11comp_targetILNS1_3genE5ELNS1_11target_archE942ELNS1_3gpuE9ELNS1_3repE0EEENS1_30default_config_static_selectorELNS0_4arch9wavefront6targetE0EEEvSF_: ; @_ZN7rocprim17ROCPRIM_400000_NS6detail17trampoline_kernelINS0_14default_configENS1_22reduce_config_selectorI18summary_stats_dataIfEEEZNS1_11reduce_implILb1ES3_PS6_S9_S6_23summary_stats_binary_opIfEEE10hipError_tPvRmT1_T2_T3_mT4_P12ihipStream_tbEUlT_E0_NS1_11comp_targetILNS1_3genE5ELNS1_11target_archE942ELNS1_3gpuE9ELNS1_3repE0EEENS1_30default_config_static_selectorELNS0_4arch9wavefront6targetE0EEEvSF_
; %bb.0:
	.section	.rodata,"a",@progbits
	.p2align	6, 0x0
	.amdhsa_kernel _ZN7rocprim17ROCPRIM_400000_NS6detail17trampoline_kernelINS0_14default_configENS1_22reduce_config_selectorI18summary_stats_dataIfEEEZNS1_11reduce_implILb1ES3_PS6_S9_S6_23summary_stats_binary_opIfEEE10hipError_tPvRmT1_T2_T3_mT4_P12ihipStream_tbEUlT_E0_NS1_11comp_targetILNS1_3genE5ELNS1_11target_archE942ELNS1_3gpuE9ELNS1_3repE0EEENS1_30default_config_static_selectorELNS0_4arch9wavefront6targetE0EEEvSF_
		.amdhsa_group_segment_fixed_size 0
		.amdhsa_private_segment_fixed_size 0
		.amdhsa_kernarg_size 80
		.amdhsa_user_sgpr_count 6
		.amdhsa_user_sgpr_private_segment_buffer 1
		.amdhsa_user_sgpr_dispatch_ptr 0
		.amdhsa_user_sgpr_queue_ptr 0
		.amdhsa_user_sgpr_kernarg_segment_ptr 1
		.amdhsa_user_sgpr_dispatch_id 0
		.amdhsa_user_sgpr_flat_scratch_init 0
		.amdhsa_user_sgpr_private_segment_size 0
		.amdhsa_wavefront_size32 1
		.amdhsa_uses_dynamic_stack 0
		.amdhsa_system_sgpr_private_segment_wavefront_offset 0
		.amdhsa_system_sgpr_workgroup_id_x 1
		.amdhsa_system_sgpr_workgroup_id_y 0
		.amdhsa_system_sgpr_workgroup_id_z 0
		.amdhsa_system_sgpr_workgroup_info 0
		.amdhsa_system_vgpr_workitem_id 0
		.amdhsa_next_free_vgpr 1
		.amdhsa_next_free_sgpr 1
		.amdhsa_reserve_vcc 0
		.amdhsa_reserve_flat_scratch 0
		.amdhsa_float_round_mode_32 0
		.amdhsa_float_round_mode_16_64 0
		.amdhsa_float_denorm_mode_32 3
		.amdhsa_float_denorm_mode_16_64 3
		.amdhsa_dx10_clamp 1
		.amdhsa_ieee_mode 1
		.amdhsa_fp16_overflow 0
		.amdhsa_workgroup_processor_mode 1
		.amdhsa_memory_ordered 1
		.amdhsa_forward_progress 1
		.amdhsa_shared_vgpr_count 0
		.amdhsa_exception_fp_ieee_invalid_op 0
		.amdhsa_exception_fp_denorm_src 0
		.amdhsa_exception_fp_ieee_div_zero 0
		.amdhsa_exception_fp_ieee_overflow 0
		.amdhsa_exception_fp_ieee_underflow 0
		.amdhsa_exception_fp_ieee_inexact 0
		.amdhsa_exception_int_div_zero 0
	.end_amdhsa_kernel
	.section	.text._ZN7rocprim17ROCPRIM_400000_NS6detail17trampoline_kernelINS0_14default_configENS1_22reduce_config_selectorI18summary_stats_dataIfEEEZNS1_11reduce_implILb1ES3_PS6_S9_S6_23summary_stats_binary_opIfEEE10hipError_tPvRmT1_T2_T3_mT4_P12ihipStream_tbEUlT_E0_NS1_11comp_targetILNS1_3genE5ELNS1_11target_archE942ELNS1_3gpuE9ELNS1_3repE0EEENS1_30default_config_static_selectorELNS0_4arch9wavefront6targetE0EEEvSF_,"axG",@progbits,_ZN7rocprim17ROCPRIM_400000_NS6detail17trampoline_kernelINS0_14default_configENS1_22reduce_config_selectorI18summary_stats_dataIfEEEZNS1_11reduce_implILb1ES3_PS6_S9_S6_23summary_stats_binary_opIfEEE10hipError_tPvRmT1_T2_T3_mT4_P12ihipStream_tbEUlT_E0_NS1_11comp_targetILNS1_3genE5ELNS1_11target_archE942ELNS1_3gpuE9ELNS1_3repE0EEENS1_30default_config_static_selectorELNS0_4arch9wavefront6targetE0EEEvSF_,comdat
.Lfunc_end1:
	.size	_ZN7rocprim17ROCPRIM_400000_NS6detail17trampoline_kernelINS0_14default_configENS1_22reduce_config_selectorI18summary_stats_dataIfEEEZNS1_11reduce_implILb1ES3_PS6_S9_S6_23summary_stats_binary_opIfEEE10hipError_tPvRmT1_T2_T3_mT4_P12ihipStream_tbEUlT_E0_NS1_11comp_targetILNS1_3genE5ELNS1_11target_archE942ELNS1_3gpuE9ELNS1_3repE0EEENS1_30default_config_static_selectorELNS0_4arch9wavefront6targetE0EEEvSF_, .Lfunc_end1-_ZN7rocprim17ROCPRIM_400000_NS6detail17trampoline_kernelINS0_14default_configENS1_22reduce_config_selectorI18summary_stats_dataIfEEEZNS1_11reduce_implILb1ES3_PS6_S9_S6_23summary_stats_binary_opIfEEE10hipError_tPvRmT1_T2_T3_mT4_P12ihipStream_tbEUlT_E0_NS1_11comp_targetILNS1_3genE5ELNS1_11target_archE942ELNS1_3gpuE9ELNS1_3repE0EEENS1_30default_config_static_selectorELNS0_4arch9wavefront6targetE0EEEvSF_
                                        ; -- End function
	.set _ZN7rocprim17ROCPRIM_400000_NS6detail17trampoline_kernelINS0_14default_configENS1_22reduce_config_selectorI18summary_stats_dataIfEEEZNS1_11reduce_implILb1ES3_PS6_S9_S6_23summary_stats_binary_opIfEEE10hipError_tPvRmT1_T2_T3_mT4_P12ihipStream_tbEUlT_E0_NS1_11comp_targetILNS1_3genE5ELNS1_11target_archE942ELNS1_3gpuE9ELNS1_3repE0EEENS1_30default_config_static_selectorELNS0_4arch9wavefront6targetE0EEEvSF_.num_vgpr, 0
	.set _ZN7rocprim17ROCPRIM_400000_NS6detail17trampoline_kernelINS0_14default_configENS1_22reduce_config_selectorI18summary_stats_dataIfEEEZNS1_11reduce_implILb1ES3_PS6_S9_S6_23summary_stats_binary_opIfEEE10hipError_tPvRmT1_T2_T3_mT4_P12ihipStream_tbEUlT_E0_NS1_11comp_targetILNS1_3genE5ELNS1_11target_archE942ELNS1_3gpuE9ELNS1_3repE0EEENS1_30default_config_static_selectorELNS0_4arch9wavefront6targetE0EEEvSF_.num_agpr, 0
	.set _ZN7rocprim17ROCPRIM_400000_NS6detail17trampoline_kernelINS0_14default_configENS1_22reduce_config_selectorI18summary_stats_dataIfEEEZNS1_11reduce_implILb1ES3_PS6_S9_S6_23summary_stats_binary_opIfEEE10hipError_tPvRmT1_T2_T3_mT4_P12ihipStream_tbEUlT_E0_NS1_11comp_targetILNS1_3genE5ELNS1_11target_archE942ELNS1_3gpuE9ELNS1_3repE0EEENS1_30default_config_static_selectorELNS0_4arch9wavefront6targetE0EEEvSF_.numbered_sgpr, 0
	.set _ZN7rocprim17ROCPRIM_400000_NS6detail17trampoline_kernelINS0_14default_configENS1_22reduce_config_selectorI18summary_stats_dataIfEEEZNS1_11reduce_implILb1ES3_PS6_S9_S6_23summary_stats_binary_opIfEEE10hipError_tPvRmT1_T2_T3_mT4_P12ihipStream_tbEUlT_E0_NS1_11comp_targetILNS1_3genE5ELNS1_11target_archE942ELNS1_3gpuE9ELNS1_3repE0EEENS1_30default_config_static_selectorELNS0_4arch9wavefront6targetE0EEEvSF_.num_named_barrier, 0
	.set _ZN7rocprim17ROCPRIM_400000_NS6detail17trampoline_kernelINS0_14default_configENS1_22reduce_config_selectorI18summary_stats_dataIfEEEZNS1_11reduce_implILb1ES3_PS6_S9_S6_23summary_stats_binary_opIfEEE10hipError_tPvRmT1_T2_T3_mT4_P12ihipStream_tbEUlT_E0_NS1_11comp_targetILNS1_3genE5ELNS1_11target_archE942ELNS1_3gpuE9ELNS1_3repE0EEENS1_30default_config_static_selectorELNS0_4arch9wavefront6targetE0EEEvSF_.private_seg_size, 0
	.set _ZN7rocprim17ROCPRIM_400000_NS6detail17trampoline_kernelINS0_14default_configENS1_22reduce_config_selectorI18summary_stats_dataIfEEEZNS1_11reduce_implILb1ES3_PS6_S9_S6_23summary_stats_binary_opIfEEE10hipError_tPvRmT1_T2_T3_mT4_P12ihipStream_tbEUlT_E0_NS1_11comp_targetILNS1_3genE5ELNS1_11target_archE942ELNS1_3gpuE9ELNS1_3repE0EEENS1_30default_config_static_selectorELNS0_4arch9wavefront6targetE0EEEvSF_.uses_vcc, 0
	.set _ZN7rocprim17ROCPRIM_400000_NS6detail17trampoline_kernelINS0_14default_configENS1_22reduce_config_selectorI18summary_stats_dataIfEEEZNS1_11reduce_implILb1ES3_PS6_S9_S6_23summary_stats_binary_opIfEEE10hipError_tPvRmT1_T2_T3_mT4_P12ihipStream_tbEUlT_E0_NS1_11comp_targetILNS1_3genE5ELNS1_11target_archE942ELNS1_3gpuE9ELNS1_3repE0EEENS1_30default_config_static_selectorELNS0_4arch9wavefront6targetE0EEEvSF_.uses_flat_scratch, 0
	.set _ZN7rocprim17ROCPRIM_400000_NS6detail17trampoline_kernelINS0_14default_configENS1_22reduce_config_selectorI18summary_stats_dataIfEEEZNS1_11reduce_implILb1ES3_PS6_S9_S6_23summary_stats_binary_opIfEEE10hipError_tPvRmT1_T2_T3_mT4_P12ihipStream_tbEUlT_E0_NS1_11comp_targetILNS1_3genE5ELNS1_11target_archE942ELNS1_3gpuE9ELNS1_3repE0EEENS1_30default_config_static_selectorELNS0_4arch9wavefront6targetE0EEEvSF_.has_dyn_sized_stack, 0
	.set _ZN7rocprim17ROCPRIM_400000_NS6detail17trampoline_kernelINS0_14default_configENS1_22reduce_config_selectorI18summary_stats_dataIfEEEZNS1_11reduce_implILb1ES3_PS6_S9_S6_23summary_stats_binary_opIfEEE10hipError_tPvRmT1_T2_T3_mT4_P12ihipStream_tbEUlT_E0_NS1_11comp_targetILNS1_3genE5ELNS1_11target_archE942ELNS1_3gpuE9ELNS1_3repE0EEENS1_30default_config_static_selectorELNS0_4arch9wavefront6targetE0EEEvSF_.has_recursion, 0
	.set _ZN7rocprim17ROCPRIM_400000_NS6detail17trampoline_kernelINS0_14default_configENS1_22reduce_config_selectorI18summary_stats_dataIfEEEZNS1_11reduce_implILb1ES3_PS6_S9_S6_23summary_stats_binary_opIfEEE10hipError_tPvRmT1_T2_T3_mT4_P12ihipStream_tbEUlT_E0_NS1_11comp_targetILNS1_3genE5ELNS1_11target_archE942ELNS1_3gpuE9ELNS1_3repE0EEENS1_30default_config_static_selectorELNS0_4arch9wavefront6targetE0EEEvSF_.has_indirect_call, 0
	.section	.AMDGPU.csdata,"",@progbits
; Kernel info:
; codeLenInByte = 0
; TotalNumSgprs: 0
; NumVgprs: 0
; ScratchSize: 0
; MemoryBound: 0
; FloatMode: 240
; IeeeMode: 1
; LDSByteSize: 0 bytes/workgroup (compile time only)
; SGPRBlocks: 0
; VGPRBlocks: 0
; NumSGPRsForWavesPerEU: 1
; NumVGPRsForWavesPerEU: 1
; Occupancy: 16
; WaveLimiterHint : 0
; COMPUTE_PGM_RSRC2:SCRATCH_EN: 0
; COMPUTE_PGM_RSRC2:USER_SGPR: 6
; COMPUTE_PGM_RSRC2:TRAP_HANDLER: 0
; COMPUTE_PGM_RSRC2:TGID_X_EN: 1
; COMPUTE_PGM_RSRC2:TGID_Y_EN: 0
; COMPUTE_PGM_RSRC2:TGID_Z_EN: 0
; COMPUTE_PGM_RSRC2:TIDIG_COMP_CNT: 0
	.section	.text._ZN7rocprim17ROCPRIM_400000_NS6detail17trampoline_kernelINS0_14default_configENS1_22reduce_config_selectorI18summary_stats_dataIfEEEZNS1_11reduce_implILb1ES3_PS6_S9_S6_23summary_stats_binary_opIfEEE10hipError_tPvRmT1_T2_T3_mT4_P12ihipStream_tbEUlT_E0_NS1_11comp_targetILNS1_3genE4ELNS1_11target_archE910ELNS1_3gpuE8ELNS1_3repE0EEENS1_30default_config_static_selectorELNS0_4arch9wavefront6targetE0EEEvSF_,"axG",@progbits,_ZN7rocprim17ROCPRIM_400000_NS6detail17trampoline_kernelINS0_14default_configENS1_22reduce_config_selectorI18summary_stats_dataIfEEEZNS1_11reduce_implILb1ES3_PS6_S9_S6_23summary_stats_binary_opIfEEE10hipError_tPvRmT1_T2_T3_mT4_P12ihipStream_tbEUlT_E0_NS1_11comp_targetILNS1_3genE4ELNS1_11target_archE910ELNS1_3gpuE8ELNS1_3repE0EEENS1_30default_config_static_selectorELNS0_4arch9wavefront6targetE0EEEvSF_,comdat
	.protected	_ZN7rocprim17ROCPRIM_400000_NS6detail17trampoline_kernelINS0_14default_configENS1_22reduce_config_selectorI18summary_stats_dataIfEEEZNS1_11reduce_implILb1ES3_PS6_S9_S6_23summary_stats_binary_opIfEEE10hipError_tPvRmT1_T2_T3_mT4_P12ihipStream_tbEUlT_E0_NS1_11comp_targetILNS1_3genE4ELNS1_11target_archE910ELNS1_3gpuE8ELNS1_3repE0EEENS1_30default_config_static_selectorELNS0_4arch9wavefront6targetE0EEEvSF_ ; -- Begin function _ZN7rocprim17ROCPRIM_400000_NS6detail17trampoline_kernelINS0_14default_configENS1_22reduce_config_selectorI18summary_stats_dataIfEEEZNS1_11reduce_implILb1ES3_PS6_S9_S6_23summary_stats_binary_opIfEEE10hipError_tPvRmT1_T2_T3_mT4_P12ihipStream_tbEUlT_E0_NS1_11comp_targetILNS1_3genE4ELNS1_11target_archE910ELNS1_3gpuE8ELNS1_3repE0EEENS1_30default_config_static_selectorELNS0_4arch9wavefront6targetE0EEEvSF_
	.globl	_ZN7rocprim17ROCPRIM_400000_NS6detail17trampoline_kernelINS0_14default_configENS1_22reduce_config_selectorI18summary_stats_dataIfEEEZNS1_11reduce_implILb1ES3_PS6_S9_S6_23summary_stats_binary_opIfEEE10hipError_tPvRmT1_T2_T3_mT4_P12ihipStream_tbEUlT_E0_NS1_11comp_targetILNS1_3genE4ELNS1_11target_archE910ELNS1_3gpuE8ELNS1_3repE0EEENS1_30default_config_static_selectorELNS0_4arch9wavefront6targetE0EEEvSF_
	.p2align	8
	.type	_ZN7rocprim17ROCPRIM_400000_NS6detail17trampoline_kernelINS0_14default_configENS1_22reduce_config_selectorI18summary_stats_dataIfEEEZNS1_11reduce_implILb1ES3_PS6_S9_S6_23summary_stats_binary_opIfEEE10hipError_tPvRmT1_T2_T3_mT4_P12ihipStream_tbEUlT_E0_NS1_11comp_targetILNS1_3genE4ELNS1_11target_archE910ELNS1_3gpuE8ELNS1_3repE0EEENS1_30default_config_static_selectorELNS0_4arch9wavefront6targetE0EEEvSF_,@function
_ZN7rocprim17ROCPRIM_400000_NS6detail17trampoline_kernelINS0_14default_configENS1_22reduce_config_selectorI18summary_stats_dataIfEEEZNS1_11reduce_implILb1ES3_PS6_S9_S6_23summary_stats_binary_opIfEEE10hipError_tPvRmT1_T2_T3_mT4_P12ihipStream_tbEUlT_E0_NS1_11comp_targetILNS1_3genE4ELNS1_11target_archE910ELNS1_3gpuE8ELNS1_3repE0EEENS1_30default_config_static_selectorELNS0_4arch9wavefront6targetE0EEEvSF_: ; @_ZN7rocprim17ROCPRIM_400000_NS6detail17trampoline_kernelINS0_14default_configENS1_22reduce_config_selectorI18summary_stats_dataIfEEEZNS1_11reduce_implILb1ES3_PS6_S9_S6_23summary_stats_binary_opIfEEE10hipError_tPvRmT1_T2_T3_mT4_P12ihipStream_tbEUlT_E0_NS1_11comp_targetILNS1_3genE4ELNS1_11target_archE910ELNS1_3gpuE8ELNS1_3repE0EEENS1_30default_config_static_selectorELNS0_4arch9wavefront6targetE0EEEvSF_
; %bb.0:
	.section	.rodata,"a",@progbits
	.p2align	6, 0x0
	.amdhsa_kernel _ZN7rocprim17ROCPRIM_400000_NS6detail17trampoline_kernelINS0_14default_configENS1_22reduce_config_selectorI18summary_stats_dataIfEEEZNS1_11reduce_implILb1ES3_PS6_S9_S6_23summary_stats_binary_opIfEEE10hipError_tPvRmT1_T2_T3_mT4_P12ihipStream_tbEUlT_E0_NS1_11comp_targetILNS1_3genE4ELNS1_11target_archE910ELNS1_3gpuE8ELNS1_3repE0EEENS1_30default_config_static_selectorELNS0_4arch9wavefront6targetE0EEEvSF_
		.amdhsa_group_segment_fixed_size 0
		.amdhsa_private_segment_fixed_size 0
		.amdhsa_kernarg_size 80
		.amdhsa_user_sgpr_count 6
		.amdhsa_user_sgpr_private_segment_buffer 1
		.amdhsa_user_sgpr_dispatch_ptr 0
		.amdhsa_user_sgpr_queue_ptr 0
		.amdhsa_user_sgpr_kernarg_segment_ptr 1
		.amdhsa_user_sgpr_dispatch_id 0
		.amdhsa_user_sgpr_flat_scratch_init 0
		.amdhsa_user_sgpr_private_segment_size 0
		.amdhsa_wavefront_size32 1
		.amdhsa_uses_dynamic_stack 0
		.amdhsa_system_sgpr_private_segment_wavefront_offset 0
		.amdhsa_system_sgpr_workgroup_id_x 1
		.amdhsa_system_sgpr_workgroup_id_y 0
		.amdhsa_system_sgpr_workgroup_id_z 0
		.amdhsa_system_sgpr_workgroup_info 0
		.amdhsa_system_vgpr_workitem_id 0
		.amdhsa_next_free_vgpr 1
		.amdhsa_next_free_sgpr 1
		.amdhsa_reserve_vcc 0
		.amdhsa_reserve_flat_scratch 0
		.amdhsa_float_round_mode_32 0
		.amdhsa_float_round_mode_16_64 0
		.amdhsa_float_denorm_mode_32 3
		.amdhsa_float_denorm_mode_16_64 3
		.amdhsa_dx10_clamp 1
		.amdhsa_ieee_mode 1
		.amdhsa_fp16_overflow 0
		.amdhsa_workgroup_processor_mode 1
		.amdhsa_memory_ordered 1
		.amdhsa_forward_progress 1
		.amdhsa_shared_vgpr_count 0
		.amdhsa_exception_fp_ieee_invalid_op 0
		.amdhsa_exception_fp_denorm_src 0
		.amdhsa_exception_fp_ieee_div_zero 0
		.amdhsa_exception_fp_ieee_overflow 0
		.amdhsa_exception_fp_ieee_underflow 0
		.amdhsa_exception_fp_ieee_inexact 0
		.amdhsa_exception_int_div_zero 0
	.end_amdhsa_kernel
	.section	.text._ZN7rocprim17ROCPRIM_400000_NS6detail17trampoline_kernelINS0_14default_configENS1_22reduce_config_selectorI18summary_stats_dataIfEEEZNS1_11reduce_implILb1ES3_PS6_S9_S6_23summary_stats_binary_opIfEEE10hipError_tPvRmT1_T2_T3_mT4_P12ihipStream_tbEUlT_E0_NS1_11comp_targetILNS1_3genE4ELNS1_11target_archE910ELNS1_3gpuE8ELNS1_3repE0EEENS1_30default_config_static_selectorELNS0_4arch9wavefront6targetE0EEEvSF_,"axG",@progbits,_ZN7rocprim17ROCPRIM_400000_NS6detail17trampoline_kernelINS0_14default_configENS1_22reduce_config_selectorI18summary_stats_dataIfEEEZNS1_11reduce_implILb1ES3_PS6_S9_S6_23summary_stats_binary_opIfEEE10hipError_tPvRmT1_T2_T3_mT4_P12ihipStream_tbEUlT_E0_NS1_11comp_targetILNS1_3genE4ELNS1_11target_archE910ELNS1_3gpuE8ELNS1_3repE0EEENS1_30default_config_static_selectorELNS0_4arch9wavefront6targetE0EEEvSF_,comdat
.Lfunc_end2:
	.size	_ZN7rocprim17ROCPRIM_400000_NS6detail17trampoline_kernelINS0_14default_configENS1_22reduce_config_selectorI18summary_stats_dataIfEEEZNS1_11reduce_implILb1ES3_PS6_S9_S6_23summary_stats_binary_opIfEEE10hipError_tPvRmT1_T2_T3_mT4_P12ihipStream_tbEUlT_E0_NS1_11comp_targetILNS1_3genE4ELNS1_11target_archE910ELNS1_3gpuE8ELNS1_3repE0EEENS1_30default_config_static_selectorELNS0_4arch9wavefront6targetE0EEEvSF_, .Lfunc_end2-_ZN7rocprim17ROCPRIM_400000_NS6detail17trampoline_kernelINS0_14default_configENS1_22reduce_config_selectorI18summary_stats_dataIfEEEZNS1_11reduce_implILb1ES3_PS6_S9_S6_23summary_stats_binary_opIfEEE10hipError_tPvRmT1_T2_T3_mT4_P12ihipStream_tbEUlT_E0_NS1_11comp_targetILNS1_3genE4ELNS1_11target_archE910ELNS1_3gpuE8ELNS1_3repE0EEENS1_30default_config_static_selectorELNS0_4arch9wavefront6targetE0EEEvSF_
                                        ; -- End function
	.set _ZN7rocprim17ROCPRIM_400000_NS6detail17trampoline_kernelINS0_14default_configENS1_22reduce_config_selectorI18summary_stats_dataIfEEEZNS1_11reduce_implILb1ES3_PS6_S9_S6_23summary_stats_binary_opIfEEE10hipError_tPvRmT1_T2_T3_mT4_P12ihipStream_tbEUlT_E0_NS1_11comp_targetILNS1_3genE4ELNS1_11target_archE910ELNS1_3gpuE8ELNS1_3repE0EEENS1_30default_config_static_selectorELNS0_4arch9wavefront6targetE0EEEvSF_.num_vgpr, 0
	.set _ZN7rocprim17ROCPRIM_400000_NS6detail17trampoline_kernelINS0_14default_configENS1_22reduce_config_selectorI18summary_stats_dataIfEEEZNS1_11reduce_implILb1ES3_PS6_S9_S6_23summary_stats_binary_opIfEEE10hipError_tPvRmT1_T2_T3_mT4_P12ihipStream_tbEUlT_E0_NS1_11comp_targetILNS1_3genE4ELNS1_11target_archE910ELNS1_3gpuE8ELNS1_3repE0EEENS1_30default_config_static_selectorELNS0_4arch9wavefront6targetE0EEEvSF_.num_agpr, 0
	.set _ZN7rocprim17ROCPRIM_400000_NS6detail17trampoline_kernelINS0_14default_configENS1_22reduce_config_selectorI18summary_stats_dataIfEEEZNS1_11reduce_implILb1ES3_PS6_S9_S6_23summary_stats_binary_opIfEEE10hipError_tPvRmT1_T2_T3_mT4_P12ihipStream_tbEUlT_E0_NS1_11comp_targetILNS1_3genE4ELNS1_11target_archE910ELNS1_3gpuE8ELNS1_3repE0EEENS1_30default_config_static_selectorELNS0_4arch9wavefront6targetE0EEEvSF_.numbered_sgpr, 0
	.set _ZN7rocprim17ROCPRIM_400000_NS6detail17trampoline_kernelINS0_14default_configENS1_22reduce_config_selectorI18summary_stats_dataIfEEEZNS1_11reduce_implILb1ES3_PS6_S9_S6_23summary_stats_binary_opIfEEE10hipError_tPvRmT1_T2_T3_mT4_P12ihipStream_tbEUlT_E0_NS1_11comp_targetILNS1_3genE4ELNS1_11target_archE910ELNS1_3gpuE8ELNS1_3repE0EEENS1_30default_config_static_selectorELNS0_4arch9wavefront6targetE0EEEvSF_.num_named_barrier, 0
	.set _ZN7rocprim17ROCPRIM_400000_NS6detail17trampoline_kernelINS0_14default_configENS1_22reduce_config_selectorI18summary_stats_dataIfEEEZNS1_11reduce_implILb1ES3_PS6_S9_S6_23summary_stats_binary_opIfEEE10hipError_tPvRmT1_T2_T3_mT4_P12ihipStream_tbEUlT_E0_NS1_11comp_targetILNS1_3genE4ELNS1_11target_archE910ELNS1_3gpuE8ELNS1_3repE0EEENS1_30default_config_static_selectorELNS0_4arch9wavefront6targetE0EEEvSF_.private_seg_size, 0
	.set _ZN7rocprim17ROCPRIM_400000_NS6detail17trampoline_kernelINS0_14default_configENS1_22reduce_config_selectorI18summary_stats_dataIfEEEZNS1_11reduce_implILb1ES3_PS6_S9_S6_23summary_stats_binary_opIfEEE10hipError_tPvRmT1_T2_T3_mT4_P12ihipStream_tbEUlT_E0_NS1_11comp_targetILNS1_3genE4ELNS1_11target_archE910ELNS1_3gpuE8ELNS1_3repE0EEENS1_30default_config_static_selectorELNS0_4arch9wavefront6targetE0EEEvSF_.uses_vcc, 0
	.set _ZN7rocprim17ROCPRIM_400000_NS6detail17trampoline_kernelINS0_14default_configENS1_22reduce_config_selectorI18summary_stats_dataIfEEEZNS1_11reduce_implILb1ES3_PS6_S9_S6_23summary_stats_binary_opIfEEE10hipError_tPvRmT1_T2_T3_mT4_P12ihipStream_tbEUlT_E0_NS1_11comp_targetILNS1_3genE4ELNS1_11target_archE910ELNS1_3gpuE8ELNS1_3repE0EEENS1_30default_config_static_selectorELNS0_4arch9wavefront6targetE0EEEvSF_.uses_flat_scratch, 0
	.set _ZN7rocprim17ROCPRIM_400000_NS6detail17trampoline_kernelINS0_14default_configENS1_22reduce_config_selectorI18summary_stats_dataIfEEEZNS1_11reduce_implILb1ES3_PS6_S9_S6_23summary_stats_binary_opIfEEE10hipError_tPvRmT1_T2_T3_mT4_P12ihipStream_tbEUlT_E0_NS1_11comp_targetILNS1_3genE4ELNS1_11target_archE910ELNS1_3gpuE8ELNS1_3repE0EEENS1_30default_config_static_selectorELNS0_4arch9wavefront6targetE0EEEvSF_.has_dyn_sized_stack, 0
	.set _ZN7rocprim17ROCPRIM_400000_NS6detail17trampoline_kernelINS0_14default_configENS1_22reduce_config_selectorI18summary_stats_dataIfEEEZNS1_11reduce_implILb1ES3_PS6_S9_S6_23summary_stats_binary_opIfEEE10hipError_tPvRmT1_T2_T3_mT4_P12ihipStream_tbEUlT_E0_NS1_11comp_targetILNS1_3genE4ELNS1_11target_archE910ELNS1_3gpuE8ELNS1_3repE0EEENS1_30default_config_static_selectorELNS0_4arch9wavefront6targetE0EEEvSF_.has_recursion, 0
	.set _ZN7rocprim17ROCPRIM_400000_NS6detail17trampoline_kernelINS0_14default_configENS1_22reduce_config_selectorI18summary_stats_dataIfEEEZNS1_11reduce_implILb1ES3_PS6_S9_S6_23summary_stats_binary_opIfEEE10hipError_tPvRmT1_T2_T3_mT4_P12ihipStream_tbEUlT_E0_NS1_11comp_targetILNS1_3genE4ELNS1_11target_archE910ELNS1_3gpuE8ELNS1_3repE0EEENS1_30default_config_static_selectorELNS0_4arch9wavefront6targetE0EEEvSF_.has_indirect_call, 0
	.section	.AMDGPU.csdata,"",@progbits
; Kernel info:
; codeLenInByte = 0
; TotalNumSgprs: 0
; NumVgprs: 0
; ScratchSize: 0
; MemoryBound: 0
; FloatMode: 240
; IeeeMode: 1
; LDSByteSize: 0 bytes/workgroup (compile time only)
; SGPRBlocks: 0
; VGPRBlocks: 0
; NumSGPRsForWavesPerEU: 1
; NumVGPRsForWavesPerEU: 1
; Occupancy: 16
; WaveLimiterHint : 0
; COMPUTE_PGM_RSRC2:SCRATCH_EN: 0
; COMPUTE_PGM_RSRC2:USER_SGPR: 6
; COMPUTE_PGM_RSRC2:TRAP_HANDLER: 0
; COMPUTE_PGM_RSRC2:TGID_X_EN: 1
; COMPUTE_PGM_RSRC2:TGID_Y_EN: 0
; COMPUTE_PGM_RSRC2:TGID_Z_EN: 0
; COMPUTE_PGM_RSRC2:TIDIG_COMP_CNT: 0
	.section	.text._ZN7rocprim17ROCPRIM_400000_NS6detail17trampoline_kernelINS0_14default_configENS1_22reduce_config_selectorI18summary_stats_dataIfEEEZNS1_11reduce_implILb1ES3_PS6_S9_S6_23summary_stats_binary_opIfEEE10hipError_tPvRmT1_T2_T3_mT4_P12ihipStream_tbEUlT_E0_NS1_11comp_targetILNS1_3genE3ELNS1_11target_archE908ELNS1_3gpuE7ELNS1_3repE0EEENS1_30default_config_static_selectorELNS0_4arch9wavefront6targetE0EEEvSF_,"axG",@progbits,_ZN7rocprim17ROCPRIM_400000_NS6detail17trampoline_kernelINS0_14default_configENS1_22reduce_config_selectorI18summary_stats_dataIfEEEZNS1_11reduce_implILb1ES3_PS6_S9_S6_23summary_stats_binary_opIfEEE10hipError_tPvRmT1_T2_T3_mT4_P12ihipStream_tbEUlT_E0_NS1_11comp_targetILNS1_3genE3ELNS1_11target_archE908ELNS1_3gpuE7ELNS1_3repE0EEENS1_30default_config_static_selectorELNS0_4arch9wavefront6targetE0EEEvSF_,comdat
	.protected	_ZN7rocprim17ROCPRIM_400000_NS6detail17trampoline_kernelINS0_14default_configENS1_22reduce_config_selectorI18summary_stats_dataIfEEEZNS1_11reduce_implILb1ES3_PS6_S9_S6_23summary_stats_binary_opIfEEE10hipError_tPvRmT1_T2_T3_mT4_P12ihipStream_tbEUlT_E0_NS1_11comp_targetILNS1_3genE3ELNS1_11target_archE908ELNS1_3gpuE7ELNS1_3repE0EEENS1_30default_config_static_selectorELNS0_4arch9wavefront6targetE0EEEvSF_ ; -- Begin function _ZN7rocprim17ROCPRIM_400000_NS6detail17trampoline_kernelINS0_14default_configENS1_22reduce_config_selectorI18summary_stats_dataIfEEEZNS1_11reduce_implILb1ES3_PS6_S9_S6_23summary_stats_binary_opIfEEE10hipError_tPvRmT1_T2_T3_mT4_P12ihipStream_tbEUlT_E0_NS1_11comp_targetILNS1_3genE3ELNS1_11target_archE908ELNS1_3gpuE7ELNS1_3repE0EEENS1_30default_config_static_selectorELNS0_4arch9wavefront6targetE0EEEvSF_
	.globl	_ZN7rocprim17ROCPRIM_400000_NS6detail17trampoline_kernelINS0_14default_configENS1_22reduce_config_selectorI18summary_stats_dataIfEEEZNS1_11reduce_implILb1ES3_PS6_S9_S6_23summary_stats_binary_opIfEEE10hipError_tPvRmT1_T2_T3_mT4_P12ihipStream_tbEUlT_E0_NS1_11comp_targetILNS1_3genE3ELNS1_11target_archE908ELNS1_3gpuE7ELNS1_3repE0EEENS1_30default_config_static_selectorELNS0_4arch9wavefront6targetE0EEEvSF_
	.p2align	8
	.type	_ZN7rocprim17ROCPRIM_400000_NS6detail17trampoline_kernelINS0_14default_configENS1_22reduce_config_selectorI18summary_stats_dataIfEEEZNS1_11reduce_implILb1ES3_PS6_S9_S6_23summary_stats_binary_opIfEEE10hipError_tPvRmT1_T2_T3_mT4_P12ihipStream_tbEUlT_E0_NS1_11comp_targetILNS1_3genE3ELNS1_11target_archE908ELNS1_3gpuE7ELNS1_3repE0EEENS1_30default_config_static_selectorELNS0_4arch9wavefront6targetE0EEEvSF_,@function
_ZN7rocprim17ROCPRIM_400000_NS6detail17trampoline_kernelINS0_14default_configENS1_22reduce_config_selectorI18summary_stats_dataIfEEEZNS1_11reduce_implILb1ES3_PS6_S9_S6_23summary_stats_binary_opIfEEE10hipError_tPvRmT1_T2_T3_mT4_P12ihipStream_tbEUlT_E0_NS1_11comp_targetILNS1_3genE3ELNS1_11target_archE908ELNS1_3gpuE7ELNS1_3repE0EEENS1_30default_config_static_selectorELNS0_4arch9wavefront6targetE0EEEvSF_: ; @_ZN7rocprim17ROCPRIM_400000_NS6detail17trampoline_kernelINS0_14default_configENS1_22reduce_config_selectorI18summary_stats_dataIfEEEZNS1_11reduce_implILb1ES3_PS6_S9_S6_23summary_stats_binary_opIfEEE10hipError_tPvRmT1_T2_T3_mT4_P12ihipStream_tbEUlT_E0_NS1_11comp_targetILNS1_3genE3ELNS1_11target_archE908ELNS1_3gpuE7ELNS1_3repE0EEENS1_30default_config_static_selectorELNS0_4arch9wavefront6targetE0EEEvSF_
; %bb.0:
	.section	.rodata,"a",@progbits
	.p2align	6, 0x0
	.amdhsa_kernel _ZN7rocprim17ROCPRIM_400000_NS6detail17trampoline_kernelINS0_14default_configENS1_22reduce_config_selectorI18summary_stats_dataIfEEEZNS1_11reduce_implILb1ES3_PS6_S9_S6_23summary_stats_binary_opIfEEE10hipError_tPvRmT1_T2_T3_mT4_P12ihipStream_tbEUlT_E0_NS1_11comp_targetILNS1_3genE3ELNS1_11target_archE908ELNS1_3gpuE7ELNS1_3repE0EEENS1_30default_config_static_selectorELNS0_4arch9wavefront6targetE0EEEvSF_
		.amdhsa_group_segment_fixed_size 0
		.amdhsa_private_segment_fixed_size 0
		.amdhsa_kernarg_size 80
		.amdhsa_user_sgpr_count 6
		.amdhsa_user_sgpr_private_segment_buffer 1
		.amdhsa_user_sgpr_dispatch_ptr 0
		.amdhsa_user_sgpr_queue_ptr 0
		.amdhsa_user_sgpr_kernarg_segment_ptr 1
		.amdhsa_user_sgpr_dispatch_id 0
		.amdhsa_user_sgpr_flat_scratch_init 0
		.amdhsa_user_sgpr_private_segment_size 0
		.amdhsa_wavefront_size32 1
		.amdhsa_uses_dynamic_stack 0
		.amdhsa_system_sgpr_private_segment_wavefront_offset 0
		.amdhsa_system_sgpr_workgroup_id_x 1
		.amdhsa_system_sgpr_workgroup_id_y 0
		.amdhsa_system_sgpr_workgroup_id_z 0
		.amdhsa_system_sgpr_workgroup_info 0
		.amdhsa_system_vgpr_workitem_id 0
		.amdhsa_next_free_vgpr 1
		.amdhsa_next_free_sgpr 1
		.amdhsa_reserve_vcc 0
		.amdhsa_reserve_flat_scratch 0
		.amdhsa_float_round_mode_32 0
		.amdhsa_float_round_mode_16_64 0
		.amdhsa_float_denorm_mode_32 3
		.amdhsa_float_denorm_mode_16_64 3
		.amdhsa_dx10_clamp 1
		.amdhsa_ieee_mode 1
		.amdhsa_fp16_overflow 0
		.amdhsa_workgroup_processor_mode 1
		.amdhsa_memory_ordered 1
		.amdhsa_forward_progress 1
		.amdhsa_shared_vgpr_count 0
		.amdhsa_exception_fp_ieee_invalid_op 0
		.amdhsa_exception_fp_denorm_src 0
		.amdhsa_exception_fp_ieee_div_zero 0
		.amdhsa_exception_fp_ieee_overflow 0
		.amdhsa_exception_fp_ieee_underflow 0
		.amdhsa_exception_fp_ieee_inexact 0
		.amdhsa_exception_int_div_zero 0
	.end_amdhsa_kernel
	.section	.text._ZN7rocprim17ROCPRIM_400000_NS6detail17trampoline_kernelINS0_14default_configENS1_22reduce_config_selectorI18summary_stats_dataIfEEEZNS1_11reduce_implILb1ES3_PS6_S9_S6_23summary_stats_binary_opIfEEE10hipError_tPvRmT1_T2_T3_mT4_P12ihipStream_tbEUlT_E0_NS1_11comp_targetILNS1_3genE3ELNS1_11target_archE908ELNS1_3gpuE7ELNS1_3repE0EEENS1_30default_config_static_selectorELNS0_4arch9wavefront6targetE0EEEvSF_,"axG",@progbits,_ZN7rocprim17ROCPRIM_400000_NS6detail17trampoline_kernelINS0_14default_configENS1_22reduce_config_selectorI18summary_stats_dataIfEEEZNS1_11reduce_implILb1ES3_PS6_S9_S6_23summary_stats_binary_opIfEEE10hipError_tPvRmT1_T2_T3_mT4_P12ihipStream_tbEUlT_E0_NS1_11comp_targetILNS1_3genE3ELNS1_11target_archE908ELNS1_3gpuE7ELNS1_3repE0EEENS1_30default_config_static_selectorELNS0_4arch9wavefront6targetE0EEEvSF_,comdat
.Lfunc_end3:
	.size	_ZN7rocprim17ROCPRIM_400000_NS6detail17trampoline_kernelINS0_14default_configENS1_22reduce_config_selectorI18summary_stats_dataIfEEEZNS1_11reduce_implILb1ES3_PS6_S9_S6_23summary_stats_binary_opIfEEE10hipError_tPvRmT1_T2_T3_mT4_P12ihipStream_tbEUlT_E0_NS1_11comp_targetILNS1_3genE3ELNS1_11target_archE908ELNS1_3gpuE7ELNS1_3repE0EEENS1_30default_config_static_selectorELNS0_4arch9wavefront6targetE0EEEvSF_, .Lfunc_end3-_ZN7rocprim17ROCPRIM_400000_NS6detail17trampoline_kernelINS0_14default_configENS1_22reduce_config_selectorI18summary_stats_dataIfEEEZNS1_11reduce_implILb1ES3_PS6_S9_S6_23summary_stats_binary_opIfEEE10hipError_tPvRmT1_T2_T3_mT4_P12ihipStream_tbEUlT_E0_NS1_11comp_targetILNS1_3genE3ELNS1_11target_archE908ELNS1_3gpuE7ELNS1_3repE0EEENS1_30default_config_static_selectorELNS0_4arch9wavefront6targetE0EEEvSF_
                                        ; -- End function
	.set _ZN7rocprim17ROCPRIM_400000_NS6detail17trampoline_kernelINS0_14default_configENS1_22reduce_config_selectorI18summary_stats_dataIfEEEZNS1_11reduce_implILb1ES3_PS6_S9_S6_23summary_stats_binary_opIfEEE10hipError_tPvRmT1_T2_T3_mT4_P12ihipStream_tbEUlT_E0_NS1_11comp_targetILNS1_3genE3ELNS1_11target_archE908ELNS1_3gpuE7ELNS1_3repE0EEENS1_30default_config_static_selectorELNS0_4arch9wavefront6targetE0EEEvSF_.num_vgpr, 0
	.set _ZN7rocprim17ROCPRIM_400000_NS6detail17trampoline_kernelINS0_14default_configENS1_22reduce_config_selectorI18summary_stats_dataIfEEEZNS1_11reduce_implILb1ES3_PS6_S9_S6_23summary_stats_binary_opIfEEE10hipError_tPvRmT1_T2_T3_mT4_P12ihipStream_tbEUlT_E0_NS1_11comp_targetILNS1_3genE3ELNS1_11target_archE908ELNS1_3gpuE7ELNS1_3repE0EEENS1_30default_config_static_selectorELNS0_4arch9wavefront6targetE0EEEvSF_.num_agpr, 0
	.set _ZN7rocprim17ROCPRIM_400000_NS6detail17trampoline_kernelINS0_14default_configENS1_22reduce_config_selectorI18summary_stats_dataIfEEEZNS1_11reduce_implILb1ES3_PS6_S9_S6_23summary_stats_binary_opIfEEE10hipError_tPvRmT1_T2_T3_mT4_P12ihipStream_tbEUlT_E0_NS1_11comp_targetILNS1_3genE3ELNS1_11target_archE908ELNS1_3gpuE7ELNS1_3repE0EEENS1_30default_config_static_selectorELNS0_4arch9wavefront6targetE0EEEvSF_.numbered_sgpr, 0
	.set _ZN7rocprim17ROCPRIM_400000_NS6detail17trampoline_kernelINS0_14default_configENS1_22reduce_config_selectorI18summary_stats_dataIfEEEZNS1_11reduce_implILb1ES3_PS6_S9_S6_23summary_stats_binary_opIfEEE10hipError_tPvRmT1_T2_T3_mT4_P12ihipStream_tbEUlT_E0_NS1_11comp_targetILNS1_3genE3ELNS1_11target_archE908ELNS1_3gpuE7ELNS1_3repE0EEENS1_30default_config_static_selectorELNS0_4arch9wavefront6targetE0EEEvSF_.num_named_barrier, 0
	.set _ZN7rocprim17ROCPRIM_400000_NS6detail17trampoline_kernelINS0_14default_configENS1_22reduce_config_selectorI18summary_stats_dataIfEEEZNS1_11reduce_implILb1ES3_PS6_S9_S6_23summary_stats_binary_opIfEEE10hipError_tPvRmT1_T2_T3_mT4_P12ihipStream_tbEUlT_E0_NS1_11comp_targetILNS1_3genE3ELNS1_11target_archE908ELNS1_3gpuE7ELNS1_3repE0EEENS1_30default_config_static_selectorELNS0_4arch9wavefront6targetE0EEEvSF_.private_seg_size, 0
	.set _ZN7rocprim17ROCPRIM_400000_NS6detail17trampoline_kernelINS0_14default_configENS1_22reduce_config_selectorI18summary_stats_dataIfEEEZNS1_11reduce_implILb1ES3_PS6_S9_S6_23summary_stats_binary_opIfEEE10hipError_tPvRmT1_T2_T3_mT4_P12ihipStream_tbEUlT_E0_NS1_11comp_targetILNS1_3genE3ELNS1_11target_archE908ELNS1_3gpuE7ELNS1_3repE0EEENS1_30default_config_static_selectorELNS0_4arch9wavefront6targetE0EEEvSF_.uses_vcc, 0
	.set _ZN7rocprim17ROCPRIM_400000_NS6detail17trampoline_kernelINS0_14default_configENS1_22reduce_config_selectorI18summary_stats_dataIfEEEZNS1_11reduce_implILb1ES3_PS6_S9_S6_23summary_stats_binary_opIfEEE10hipError_tPvRmT1_T2_T3_mT4_P12ihipStream_tbEUlT_E0_NS1_11comp_targetILNS1_3genE3ELNS1_11target_archE908ELNS1_3gpuE7ELNS1_3repE0EEENS1_30default_config_static_selectorELNS0_4arch9wavefront6targetE0EEEvSF_.uses_flat_scratch, 0
	.set _ZN7rocprim17ROCPRIM_400000_NS6detail17trampoline_kernelINS0_14default_configENS1_22reduce_config_selectorI18summary_stats_dataIfEEEZNS1_11reduce_implILb1ES3_PS6_S9_S6_23summary_stats_binary_opIfEEE10hipError_tPvRmT1_T2_T3_mT4_P12ihipStream_tbEUlT_E0_NS1_11comp_targetILNS1_3genE3ELNS1_11target_archE908ELNS1_3gpuE7ELNS1_3repE0EEENS1_30default_config_static_selectorELNS0_4arch9wavefront6targetE0EEEvSF_.has_dyn_sized_stack, 0
	.set _ZN7rocprim17ROCPRIM_400000_NS6detail17trampoline_kernelINS0_14default_configENS1_22reduce_config_selectorI18summary_stats_dataIfEEEZNS1_11reduce_implILb1ES3_PS6_S9_S6_23summary_stats_binary_opIfEEE10hipError_tPvRmT1_T2_T3_mT4_P12ihipStream_tbEUlT_E0_NS1_11comp_targetILNS1_3genE3ELNS1_11target_archE908ELNS1_3gpuE7ELNS1_3repE0EEENS1_30default_config_static_selectorELNS0_4arch9wavefront6targetE0EEEvSF_.has_recursion, 0
	.set _ZN7rocprim17ROCPRIM_400000_NS6detail17trampoline_kernelINS0_14default_configENS1_22reduce_config_selectorI18summary_stats_dataIfEEEZNS1_11reduce_implILb1ES3_PS6_S9_S6_23summary_stats_binary_opIfEEE10hipError_tPvRmT1_T2_T3_mT4_P12ihipStream_tbEUlT_E0_NS1_11comp_targetILNS1_3genE3ELNS1_11target_archE908ELNS1_3gpuE7ELNS1_3repE0EEENS1_30default_config_static_selectorELNS0_4arch9wavefront6targetE0EEEvSF_.has_indirect_call, 0
	.section	.AMDGPU.csdata,"",@progbits
; Kernel info:
; codeLenInByte = 0
; TotalNumSgprs: 0
; NumVgprs: 0
; ScratchSize: 0
; MemoryBound: 0
; FloatMode: 240
; IeeeMode: 1
; LDSByteSize: 0 bytes/workgroup (compile time only)
; SGPRBlocks: 0
; VGPRBlocks: 0
; NumSGPRsForWavesPerEU: 1
; NumVGPRsForWavesPerEU: 1
; Occupancy: 16
; WaveLimiterHint : 0
; COMPUTE_PGM_RSRC2:SCRATCH_EN: 0
; COMPUTE_PGM_RSRC2:USER_SGPR: 6
; COMPUTE_PGM_RSRC2:TRAP_HANDLER: 0
; COMPUTE_PGM_RSRC2:TGID_X_EN: 1
; COMPUTE_PGM_RSRC2:TGID_Y_EN: 0
; COMPUTE_PGM_RSRC2:TGID_Z_EN: 0
; COMPUTE_PGM_RSRC2:TIDIG_COMP_CNT: 0
	.section	.text._ZN7rocprim17ROCPRIM_400000_NS6detail17trampoline_kernelINS0_14default_configENS1_22reduce_config_selectorI18summary_stats_dataIfEEEZNS1_11reduce_implILb1ES3_PS6_S9_S6_23summary_stats_binary_opIfEEE10hipError_tPvRmT1_T2_T3_mT4_P12ihipStream_tbEUlT_E0_NS1_11comp_targetILNS1_3genE2ELNS1_11target_archE906ELNS1_3gpuE6ELNS1_3repE0EEENS1_30default_config_static_selectorELNS0_4arch9wavefront6targetE0EEEvSF_,"axG",@progbits,_ZN7rocprim17ROCPRIM_400000_NS6detail17trampoline_kernelINS0_14default_configENS1_22reduce_config_selectorI18summary_stats_dataIfEEEZNS1_11reduce_implILb1ES3_PS6_S9_S6_23summary_stats_binary_opIfEEE10hipError_tPvRmT1_T2_T3_mT4_P12ihipStream_tbEUlT_E0_NS1_11comp_targetILNS1_3genE2ELNS1_11target_archE906ELNS1_3gpuE6ELNS1_3repE0EEENS1_30default_config_static_selectorELNS0_4arch9wavefront6targetE0EEEvSF_,comdat
	.protected	_ZN7rocprim17ROCPRIM_400000_NS6detail17trampoline_kernelINS0_14default_configENS1_22reduce_config_selectorI18summary_stats_dataIfEEEZNS1_11reduce_implILb1ES3_PS6_S9_S6_23summary_stats_binary_opIfEEE10hipError_tPvRmT1_T2_T3_mT4_P12ihipStream_tbEUlT_E0_NS1_11comp_targetILNS1_3genE2ELNS1_11target_archE906ELNS1_3gpuE6ELNS1_3repE0EEENS1_30default_config_static_selectorELNS0_4arch9wavefront6targetE0EEEvSF_ ; -- Begin function _ZN7rocprim17ROCPRIM_400000_NS6detail17trampoline_kernelINS0_14default_configENS1_22reduce_config_selectorI18summary_stats_dataIfEEEZNS1_11reduce_implILb1ES3_PS6_S9_S6_23summary_stats_binary_opIfEEE10hipError_tPvRmT1_T2_T3_mT4_P12ihipStream_tbEUlT_E0_NS1_11comp_targetILNS1_3genE2ELNS1_11target_archE906ELNS1_3gpuE6ELNS1_3repE0EEENS1_30default_config_static_selectorELNS0_4arch9wavefront6targetE0EEEvSF_
	.globl	_ZN7rocprim17ROCPRIM_400000_NS6detail17trampoline_kernelINS0_14default_configENS1_22reduce_config_selectorI18summary_stats_dataIfEEEZNS1_11reduce_implILb1ES3_PS6_S9_S6_23summary_stats_binary_opIfEEE10hipError_tPvRmT1_T2_T3_mT4_P12ihipStream_tbEUlT_E0_NS1_11comp_targetILNS1_3genE2ELNS1_11target_archE906ELNS1_3gpuE6ELNS1_3repE0EEENS1_30default_config_static_selectorELNS0_4arch9wavefront6targetE0EEEvSF_
	.p2align	8
	.type	_ZN7rocprim17ROCPRIM_400000_NS6detail17trampoline_kernelINS0_14default_configENS1_22reduce_config_selectorI18summary_stats_dataIfEEEZNS1_11reduce_implILb1ES3_PS6_S9_S6_23summary_stats_binary_opIfEEE10hipError_tPvRmT1_T2_T3_mT4_P12ihipStream_tbEUlT_E0_NS1_11comp_targetILNS1_3genE2ELNS1_11target_archE906ELNS1_3gpuE6ELNS1_3repE0EEENS1_30default_config_static_selectorELNS0_4arch9wavefront6targetE0EEEvSF_,@function
_ZN7rocprim17ROCPRIM_400000_NS6detail17trampoline_kernelINS0_14default_configENS1_22reduce_config_selectorI18summary_stats_dataIfEEEZNS1_11reduce_implILb1ES3_PS6_S9_S6_23summary_stats_binary_opIfEEE10hipError_tPvRmT1_T2_T3_mT4_P12ihipStream_tbEUlT_E0_NS1_11comp_targetILNS1_3genE2ELNS1_11target_archE906ELNS1_3gpuE6ELNS1_3repE0EEENS1_30default_config_static_selectorELNS0_4arch9wavefront6targetE0EEEvSF_: ; @_ZN7rocprim17ROCPRIM_400000_NS6detail17trampoline_kernelINS0_14default_configENS1_22reduce_config_selectorI18summary_stats_dataIfEEEZNS1_11reduce_implILb1ES3_PS6_S9_S6_23summary_stats_binary_opIfEEE10hipError_tPvRmT1_T2_T3_mT4_P12ihipStream_tbEUlT_E0_NS1_11comp_targetILNS1_3genE2ELNS1_11target_archE906ELNS1_3gpuE6ELNS1_3repE0EEENS1_30default_config_static_selectorELNS0_4arch9wavefront6targetE0EEEvSF_
; %bb.0:
	.section	.rodata,"a",@progbits
	.p2align	6, 0x0
	.amdhsa_kernel _ZN7rocprim17ROCPRIM_400000_NS6detail17trampoline_kernelINS0_14default_configENS1_22reduce_config_selectorI18summary_stats_dataIfEEEZNS1_11reduce_implILb1ES3_PS6_S9_S6_23summary_stats_binary_opIfEEE10hipError_tPvRmT1_T2_T3_mT4_P12ihipStream_tbEUlT_E0_NS1_11comp_targetILNS1_3genE2ELNS1_11target_archE906ELNS1_3gpuE6ELNS1_3repE0EEENS1_30default_config_static_selectorELNS0_4arch9wavefront6targetE0EEEvSF_
		.amdhsa_group_segment_fixed_size 0
		.amdhsa_private_segment_fixed_size 0
		.amdhsa_kernarg_size 80
		.amdhsa_user_sgpr_count 6
		.amdhsa_user_sgpr_private_segment_buffer 1
		.amdhsa_user_sgpr_dispatch_ptr 0
		.amdhsa_user_sgpr_queue_ptr 0
		.amdhsa_user_sgpr_kernarg_segment_ptr 1
		.amdhsa_user_sgpr_dispatch_id 0
		.amdhsa_user_sgpr_flat_scratch_init 0
		.amdhsa_user_sgpr_private_segment_size 0
		.amdhsa_wavefront_size32 1
		.amdhsa_uses_dynamic_stack 0
		.amdhsa_system_sgpr_private_segment_wavefront_offset 0
		.amdhsa_system_sgpr_workgroup_id_x 1
		.amdhsa_system_sgpr_workgroup_id_y 0
		.amdhsa_system_sgpr_workgroup_id_z 0
		.amdhsa_system_sgpr_workgroup_info 0
		.amdhsa_system_vgpr_workitem_id 0
		.amdhsa_next_free_vgpr 1
		.amdhsa_next_free_sgpr 1
		.amdhsa_reserve_vcc 0
		.amdhsa_reserve_flat_scratch 0
		.amdhsa_float_round_mode_32 0
		.amdhsa_float_round_mode_16_64 0
		.amdhsa_float_denorm_mode_32 3
		.amdhsa_float_denorm_mode_16_64 3
		.amdhsa_dx10_clamp 1
		.amdhsa_ieee_mode 1
		.amdhsa_fp16_overflow 0
		.amdhsa_workgroup_processor_mode 1
		.amdhsa_memory_ordered 1
		.amdhsa_forward_progress 1
		.amdhsa_shared_vgpr_count 0
		.amdhsa_exception_fp_ieee_invalid_op 0
		.amdhsa_exception_fp_denorm_src 0
		.amdhsa_exception_fp_ieee_div_zero 0
		.amdhsa_exception_fp_ieee_overflow 0
		.amdhsa_exception_fp_ieee_underflow 0
		.amdhsa_exception_fp_ieee_inexact 0
		.amdhsa_exception_int_div_zero 0
	.end_amdhsa_kernel
	.section	.text._ZN7rocprim17ROCPRIM_400000_NS6detail17trampoline_kernelINS0_14default_configENS1_22reduce_config_selectorI18summary_stats_dataIfEEEZNS1_11reduce_implILb1ES3_PS6_S9_S6_23summary_stats_binary_opIfEEE10hipError_tPvRmT1_T2_T3_mT4_P12ihipStream_tbEUlT_E0_NS1_11comp_targetILNS1_3genE2ELNS1_11target_archE906ELNS1_3gpuE6ELNS1_3repE0EEENS1_30default_config_static_selectorELNS0_4arch9wavefront6targetE0EEEvSF_,"axG",@progbits,_ZN7rocprim17ROCPRIM_400000_NS6detail17trampoline_kernelINS0_14default_configENS1_22reduce_config_selectorI18summary_stats_dataIfEEEZNS1_11reduce_implILb1ES3_PS6_S9_S6_23summary_stats_binary_opIfEEE10hipError_tPvRmT1_T2_T3_mT4_P12ihipStream_tbEUlT_E0_NS1_11comp_targetILNS1_3genE2ELNS1_11target_archE906ELNS1_3gpuE6ELNS1_3repE0EEENS1_30default_config_static_selectorELNS0_4arch9wavefront6targetE0EEEvSF_,comdat
.Lfunc_end4:
	.size	_ZN7rocprim17ROCPRIM_400000_NS6detail17trampoline_kernelINS0_14default_configENS1_22reduce_config_selectorI18summary_stats_dataIfEEEZNS1_11reduce_implILb1ES3_PS6_S9_S6_23summary_stats_binary_opIfEEE10hipError_tPvRmT1_T2_T3_mT4_P12ihipStream_tbEUlT_E0_NS1_11comp_targetILNS1_3genE2ELNS1_11target_archE906ELNS1_3gpuE6ELNS1_3repE0EEENS1_30default_config_static_selectorELNS0_4arch9wavefront6targetE0EEEvSF_, .Lfunc_end4-_ZN7rocprim17ROCPRIM_400000_NS6detail17trampoline_kernelINS0_14default_configENS1_22reduce_config_selectorI18summary_stats_dataIfEEEZNS1_11reduce_implILb1ES3_PS6_S9_S6_23summary_stats_binary_opIfEEE10hipError_tPvRmT1_T2_T3_mT4_P12ihipStream_tbEUlT_E0_NS1_11comp_targetILNS1_3genE2ELNS1_11target_archE906ELNS1_3gpuE6ELNS1_3repE0EEENS1_30default_config_static_selectorELNS0_4arch9wavefront6targetE0EEEvSF_
                                        ; -- End function
	.set _ZN7rocprim17ROCPRIM_400000_NS6detail17trampoline_kernelINS0_14default_configENS1_22reduce_config_selectorI18summary_stats_dataIfEEEZNS1_11reduce_implILb1ES3_PS6_S9_S6_23summary_stats_binary_opIfEEE10hipError_tPvRmT1_T2_T3_mT4_P12ihipStream_tbEUlT_E0_NS1_11comp_targetILNS1_3genE2ELNS1_11target_archE906ELNS1_3gpuE6ELNS1_3repE0EEENS1_30default_config_static_selectorELNS0_4arch9wavefront6targetE0EEEvSF_.num_vgpr, 0
	.set _ZN7rocprim17ROCPRIM_400000_NS6detail17trampoline_kernelINS0_14default_configENS1_22reduce_config_selectorI18summary_stats_dataIfEEEZNS1_11reduce_implILb1ES3_PS6_S9_S6_23summary_stats_binary_opIfEEE10hipError_tPvRmT1_T2_T3_mT4_P12ihipStream_tbEUlT_E0_NS1_11comp_targetILNS1_3genE2ELNS1_11target_archE906ELNS1_3gpuE6ELNS1_3repE0EEENS1_30default_config_static_selectorELNS0_4arch9wavefront6targetE0EEEvSF_.num_agpr, 0
	.set _ZN7rocprim17ROCPRIM_400000_NS6detail17trampoline_kernelINS0_14default_configENS1_22reduce_config_selectorI18summary_stats_dataIfEEEZNS1_11reduce_implILb1ES3_PS6_S9_S6_23summary_stats_binary_opIfEEE10hipError_tPvRmT1_T2_T3_mT4_P12ihipStream_tbEUlT_E0_NS1_11comp_targetILNS1_3genE2ELNS1_11target_archE906ELNS1_3gpuE6ELNS1_3repE0EEENS1_30default_config_static_selectorELNS0_4arch9wavefront6targetE0EEEvSF_.numbered_sgpr, 0
	.set _ZN7rocprim17ROCPRIM_400000_NS6detail17trampoline_kernelINS0_14default_configENS1_22reduce_config_selectorI18summary_stats_dataIfEEEZNS1_11reduce_implILb1ES3_PS6_S9_S6_23summary_stats_binary_opIfEEE10hipError_tPvRmT1_T2_T3_mT4_P12ihipStream_tbEUlT_E0_NS1_11comp_targetILNS1_3genE2ELNS1_11target_archE906ELNS1_3gpuE6ELNS1_3repE0EEENS1_30default_config_static_selectorELNS0_4arch9wavefront6targetE0EEEvSF_.num_named_barrier, 0
	.set _ZN7rocprim17ROCPRIM_400000_NS6detail17trampoline_kernelINS0_14default_configENS1_22reduce_config_selectorI18summary_stats_dataIfEEEZNS1_11reduce_implILb1ES3_PS6_S9_S6_23summary_stats_binary_opIfEEE10hipError_tPvRmT1_T2_T3_mT4_P12ihipStream_tbEUlT_E0_NS1_11comp_targetILNS1_3genE2ELNS1_11target_archE906ELNS1_3gpuE6ELNS1_3repE0EEENS1_30default_config_static_selectorELNS0_4arch9wavefront6targetE0EEEvSF_.private_seg_size, 0
	.set _ZN7rocprim17ROCPRIM_400000_NS6detail17trampoline_kernelINS0_14default_configENS1_22reduce_config_selectorI18summary_stats_dataIfEEEZNS1_11reduce_implILb1ES3_PS6_S9_S6_23summary_stats_binary_opIfEEE10hipError_tPvRmT1_T2_T3_mT4_P12ihipStream_tbEUlT_E0_NS1_11comp_targetILNS1_3genE2ELNS1_11target_archE906ELNS1_3gpuE6ELNS1_3repE0EEENS1_30default_config_static_selectorELNS0_4arch9wavefront6targetE0EEEvSF_.uses_vcc, 0
	.set _ZN7rocprim17ROCPRIM_400000_NS6detail17trampoline_kernelINS0_14default_configENS1_22reduce_config_selectorI18summary_stats_dataIfEEEZNS1_11reduce_implILb1ES3_PS6_S9_S6_23summary_stats_binary_opIfEEE10hipError_tPvRmT1_T2_T3_mT4_P12ihipStream_tbEUlT_E0_NS1_11comp_targetILNS1_3genE2ELNS1_11target_archE906ELNS1_3gpuE6ELNS1_3repE0EEENS1_30default_config_static_selectorELNS0_4arch9wavefront6targetE0EEEvSF_.uses_flat_scratch, 0
	.set _ZN7rocprim17ROCPRIM_400000_NS6detail17trampoline_kernelINS0_14default_configENS1_22reduce_config_selectorI18summary_stats_dataIfEEEZNS1_11reduce_implILb1ES3_PS6_S9_S6_23summary_stats_binary_opIfEEE10hipError_tPvRmT1_T2_T3_mT4_P12ihipStream_tbEUlT_E0_NS1_11comp_targetILNS1_3genE2ELNS1_11target_archE906ELNS1_3gpuE6ELNS1_3repE0EEENS1_30default_config_static_selectorELNS0_4arch9wavefront6targetE0EEEvSF_.has_dyn_sized_stack, 0
	.set _ZN7rocprim17ROCPRIM_400000_NS6detail17trampoline_kernelINS0_14default_configENS1_22reduce_config_selectorI18summary_stats_dataIfEEEZNS1_11reduce_implILb1ES3_PS6_S9_S6_23summary_stats_binary_opIfEEE10hipError_tPvRmT1_T2_T3_mT4_P12ihipStream_tbEUlT_E0_NS1_11comp_targetILNS1_3genE2ELNS1_11target_archE906ELNS1_3gpuE6ELNS1_3repE0EEENS1_30default_config_static_selectorELNS0_4arch9wavefront6targetE0EEEvSF_.has_recursion, 0
	.set _ZN7rocprim17ROCPRIM_400000_NS6detail17trampoline_kernelINS0_14default_configENS1_22reduce_config_selectorI18summary_stats_dataIfEEEZNS1_11reduce_implILb1ES3_PS6_S9_S6_23summary_stats_binary_opIfEEE10hipError_tPvRmT1_T2_T3_mT4_P12ihipStream_tbEUlT_E0_NS1_11comp_targetILNS1_3genE2ELNS1_11target_archE906ELNS1_3gpuE6ELNS1_3repE0EEENS1_30default_config_static_selectorELNS0_4arch9wavefront6targetE0EEEvSF_.has_indirect_call, 0
	.section	.AMDGPU.csdata,"",@progbits
; Kernel info:
; codeLenInByte = 0
; TotalNumSgprs: 0
; NumVgprs: 0
; ScratchSize: 0
; MemoryBound: 0
; FloatMode: 240
; IeeeMode: 1
; LDSByteSize: 0 bytes/workgroup (compile time only)
; SGPRBlocks: 0
; VGPRBlocks: 0
; NumSGPRsForWavesPerEU: 1
; NumVGPRsForWavesPerEU: 1
; Occupancy: 16
; WaveLimiterHint : 0
; COMPUTE_PGM_RSRC2:SCRATCH_EN: 0
; COMPUTE_PGM_RSRC2:USER_SGPR: 6
; COMPUTE_PGM_RSRC2:TRAP_HANDLER: 0
; COMPUTE_PGM_RSRC2:TGID_X_EN: 1
; COMPUTE_PGM_RSRC2:TGID_Y_EN: 0
; COMPUTE_PGM_RSRC2:TGID_Z_EN: 0
; COMPUTE_PGM_RSRC2:TIDIG_COMP_CNT: 0
	.section	.text._ZN7rocprim17ROCPRIM_400000_NS6detail17trampoline_kernelINS0_14default_configENS1_22reduce_config_selectorI18summary_stats_dataIfEEEZNS1_11reduce_implILb1ES3_PS6_S9_S6_23summary_stats_binary_opIfEEE10hipError_tPvRmT1_T2_T3_mT4_P12ihipStream_tbEUlT_E0_NS1_11comp_targetILNS1_3genE10ELNS1_11target_archE1201ELNS1_3gpuE5ELNS1_3repE0EEENS1_30default_config_static_selectorELNS0_4arch9wavefront6targetE0EEEvSF_,"axG",@progbits,_ZN7rocprim17ROCPRIM_400000_NS6detail17trampoline_kernelINS0_14default_configENS1_22reduce_config_selectorI18summary_stats_dataIfEEEZNS1_11reduce_implILb1ES3_PS6_S9_S6_23summary_stats_binary_opIfEEE10hipError_tPvRmT1_T2_T3_mT4_P12ihipStream_tbEUlT_E0_NS1_11comp_targetILNS1_3genE10ELNS1_11target_archE1201ELNS1_3gpuE5ELNS1_3repE0EEENS1_30default_config_static_selectorELNS0_4arch9wavefront6targetE0EEEvSF_,comdat
	.protected	_ZN7rocprim17ROCPRIM_400000_NS6detail17trampoline_kernelINS0_14default_configENS1_22reduce_config_selectorI18summary_stats_dataIfEEEZNS1_11reduce_implILb1ES3_PS6_S9_S6_23summary_stats_binary_opIfEEE10hipError_tPvRmT1_T2_T3_mT4_P12ihipStream_tbEUlT_E0_NS1_11comp_targetILNS1_3genE10ELNS1_11target_archE1201ELNS1_3gpuE5ELNS1_3repE0EEENS1_30default_config_static_selectorELNS0_4arch9wavefront6targetE0EEEvSF_ ; -- Begin function _ZN7rocprim17ROCPRIM_400000_NS6detail17trampoline_kernelINS0_14default_configENS1_22reduce_config_selectorI18summary_stats_dataIfEEEZNS1_11reduce_implILb1ES3_PS6_S9_S6_23summary_stats_binary_opIfEEE10hipError_tPvRmT1_T2_T3_mT4_P12ihipStream_tbEUlT_E0_NS1_11comp_targetILNS1_3genE10ELNS1_11target_archE1201ELNS1_3gpuE5ELNS1_3repE0EEENS1_30default_config_static_selectorELNS0_4arch9wavefront6targetE0EEEvSF_
	.globl	_ZN7rocprim17ROCPRIM_400000_NS6detail17trampoline_kernelINS0_14default_configENS1_22reduce_config_selectorI18summary_stats_dataIfEEEZNS1_11reduce_implILb1ES3_PS6_S9_S6_23summary_stats_binary_opIfEEE10hipError_tPvRmT1_T2_T3_mT4_P12ihipStream_tbEUlT_E0_NS1_11comp_targetILNS1_3genE10ELNS1_11target_archE1201ELNS1_3gpuE5ELNS1_3repE0EEENS1_30default_config_static_selectorELNS0_4arch9wavefront6targetE0EEEvSF_
	.p2align	8
	.type	_ZN7rocprim17ROCPRIM_400000_NS6detail17trampoline_kernelINS0_14default_configENS1_22reduce_config_selectorI18summary_stats_dataIfEEEZNS1_11reduce_implILb1ES3_PS6_S9_S6_23summary_stats_binary_opIfEEE10hipError_tPvRmT1_T2_T3_mT4_P12ihipStream_tbEUlT_E0_NS1_11comp_targetILNS1_3genE10ELNS1_11target_archE1201ELNS1_3gpuE5ELNS1_3repE0EEENS1_30default_config_static_selectorELNS0_4arch9wavefront6targetE0EEEvSF_,@function
_ZN7rocprim17ROCPRIM_400000_NS6detail17trampoline_kernelINS0_14default_configENS1_22reduce_config_selectorI18summary_stats_dataIfEEEZNS1_11reduce_implILb1ES3_PS6_S9_S6_23summary_stats_binary_opIfEEE10hipError_tPvRmT1_T2_T3_mT4_P12ihipStream_tbEUlT_E0_NS1_11comp_targetILNS1_3genE10ELNS1_11target_archE1201ELNS1_3gpuE5ELNS1_3repE0EEENS1_30default_config_static_selectorELNS0_4arch9wavefront6targetE0EEEvSF_: ; @_ZN7rocprim17ROCPRIM_400000_NS6detail17trampoline_kernelINS0_14default_configENS1_22reduce_config_selectorI18summary_stats_dataIfEEEZNS1_11reduce_implILb1ES3_PS6_S9_S6_23summary_stats_binary_opIfEEE10hipError_tPvRmT1_T2_T3_mT4_P12ihipStream_tbEUlT_E0_NS1_11comp_targetILNS1_3genE10ELNS1_11target_archE1201ELNS1_3gpuE5ELNS1_3repE0EEENS1_30default_config_static_selectorELNS0_4arch9wavefront6targetE0EEEvSF_
; %bb.0:
	.section	.rodata,"a",@progbits
	.p2align	6, 0x0
	.amdhsa_kernel _ZN7rocprim17ROCPRIM_400000_NS6detail17trampoline_kernelINS0_14default_configENS1_22reduce_config_selectorI18summary_stats_dataIfEEEZNS1_11reduce_implILb1ES3_PS6_S9_S6_23summary_stats_binary_opIfEEE10hipError_tPvRmT1_T2_T3_mT4_P12ihipStream_tbEUlT_E0_NS1_11comp_targetILNS1_3genE10ELNS1_11target_archE1201ELNS1_3gpuE5ELNS1_3repE0EEENS1_30default_config_static_selectorELNS0_4arch9wavefront6targetE0EEEvSF_
		.amdhsa_group_segment_fixed_size 0
		.amdhsa_private_segment_fixed_size 0
		.amdhsa_kernarg_size 80
		.amdhsa_user_sgpr_count 6
		.amdhsa_user_sgpr_private_segment_buffer 1
		.amdhsa_user_sgpr_dispatch_ptr 0
		.amdhsa_user_sgpr_queue_ptr 0
		.amdhsa_user_sgpr_kernarg_segment_ptr 1
		.amdhsa_user_sgpr_dispatch_id 0
		.amdhsa_user_sgpr_flat_scratch_init 0
		.amdhsa_user_sgpr_private_segment_size 0
		.amdhsa_wavefront_size32 1
		.amdhsa_uses_dynamic_stack 0
		.amdhsa_system_sgpr_private_segment_wavefront_offset 0
		.amdhsa_system_sgpr_workgroup_id_x 1
		.amdhsa_system_sgpr_workgroup_id_y 0
		.amdhsa_system_sgpr_workgroup_id_z 0
		.amdhsa_system_sgpr_workgroup_info 0
		.amdhsa_system_vgpr_workitem_id 0
		.amdhsa_next_free_vgpr 1
		.amdhsa_next_free_sgpr 1
		.amdhsa_reserve_vcc 0
		.amdhsa_reserve_flat_scratch 0
		.amdhsa_float_round_mode_32 0
		.amdhsa_float_round_mode_16_64 0
		.amdhsa_float_denorm_mode_32 3
		.amdhsa_float_denorm_mode_16_64 3
		.amdhsa_dx10_clamp 1
		.amdhsa_ieee_mode 1
		.amdhsa_fp16_overflow 0
		.amdhsa_workgroup_processor_mode 1
		.amdhsa_memory_ordered 1
		.amdhsa_forward_progress 1
		.amdhsa_shared_vgpr_count 0
		.amdhsa_exception_fp_ieee_invalid_op 0
		.amdhsa_exception_fp_denorm_src 0
		.amdhsa_exception_fp_ieee_div_zero 0
		.amdhsa_exception_fp_ieee_overflow 0
		.amdhsa_exception_fp_ieee_underflow 0
		.amdhsa_exception_fp_ieee_inexact 0
		.amdhsa_exception_int_div_zero 0
	.end_amdhsa_kernel
	.section	.text._ZN7rocprim17ROCPRIM_400000_NS6detail17trampoline_kernelINS0_14default_configENS1_22reduce_config_selectorI18summary_stats_dataIfEEEZNS1_11reduce_implILb1ES3_PS6_S9_S6_23summary_stats_binary_opIfEEE10hipError_tPvRmT1_T2_T3_mT4_P12ihipStream_tbEUlT_E0_NS1_11comp_targetILNS1_3genE10ELNS1_11target_archE1201ELNS1_3gpuE5ELNS1_3repE0EEENS1_30default_config_static_selectorELNS0_4arch9wavefront6targetE0EEEvSF_,"axG",@progbits,_ZN7rocprim17ROCPRIM_400000_NS6detail17trampoline_kernelINS0_14default_configENS1_22reduce_config_selectorI18summary_stats_dataIfEEEZNS1_11reduce_implILb1ES3_PS6_S9_S6_23summary_stats_binary_opIfEEE10hipError_tPvRmT1_T2_T3_mT4_P12ihipStream_tbEUlT_E0_NS1_11comp_targetILNS1_3genE10ELNS1_11target_archE1201ELNS1_3gpuE5ELNS1_3repE0EEENS1_30default_config_static_selectorELNS0_4arch9wavefront6targetE0EEEvSF_,comdat
.Lfunc_end5:
	.size	_ZN7rocprim17ROCPRIM_400000_NS6detail17trampoline_kernelINS0_14default_configENS1_22reduce_config_selectorI18summary_stats_dataIfEEEZNS1_11reduce_implILb1ES3_PS6_S9_S6_23summary_stats_binary_opIfEEE10hipError_tPvRmT1_T2_T3_mT4_P12ihipStream_tbEUlT_E0_NS1_11comp_targetILNS1_3genE10ELNS1_11target_archE1201ELNS1_3gpuE5ELNS1_3repE0EEENS1_30default_config_static_selectorELNS0_4arch9wavefront6targetE0EEEvSF_, .Lfunc_end5-_ZN7rocprim17ROCPRIM_400000_NS6detail17trampoline_kernelINS0_14default_configENS1_22reduce_config_selectorI18summary_stats_dataIfEEEZNS1_11reduce_implILb1ES3_PS6_S9_S6_23summary_stats_binary_opIfEEE10hipError_tPvRmT1_T2_T3_mT4_P12ihipStream_tbEUlT_E0_NS1_11comp_targetILNS1_3genE10ELNS1_11target_archE1201ELNS1_3gpuE5ELNS1_3repE0EEENS1_30default_config_static_selectorELNS0_4arch9wavefront6targetE0EEEvSF_
                                        ; -- End function
	.set _ZN7rocprim17ROCPRIM_400000_NS6detail17trampoline_kernelINS0_14default_configENS1_22reduce_config_selectorI18summary_stats_dataIfEEEZNS1_11reduce_implILb1ES3_PS6_S9_S6_23summary_stats_binary_opIfEEE10hipError_tPvRmT1_T2_T3_mT4_P12ihipStream_tbEUlT_E0_NS1_11comp_targetILNS1_3genE10ELNS1_11target_archE1201ELNS1_3gpuE5ELNS1_3repE0EEENS1_30default_config_static_selectorELNS0_4arch9wavefront6targetE0EEEvSF_.num_vgpr, 0
	.set _ZN7rocprim17ROCPRIM_400000_NS6detail17trampoline_kernelINS0_14default_configENS1_22reduce_config_selectorI18summary_stats_dataIfEEEZNS1_11reduce_implILb1ES3_PS6_S9_S6_23summary_stats_binary_opIfEEE10hipError_tPvRmT1_T2_T3_mT4_P12ihipStream_tbEUlT_E0_NS1_11comp_targetILNS1_3genE10ELNS1_11target_archE1201ELNS1_3gpuE5ELNS1_3repE0EEENS1_30default_config_static_selectorELNS0_4arch9wavefront6targetE0EEEvSF_.num_agpr, 0
	.set _ZN7rocprim17ROCPRIM_400000_NS6detail17trampoline_kernelINS0_14default_configENS1_22reduce_config_selectorI18summary_stats_dataIfEEEZNS1_11reduce_implILb1ES3_PS6_S9_S6_23summary_stats_binary_opIfEEE10hipError_tPvRmT1_T2_T3_mT4_P12ihipStream_tbEUlT_E0_NS1_11comp_targetILNS1_3genE10ELNS1_11target_archE1201ELNS1_3gpuE5ELNS1_3repE0EEENS1_30default_config_static_selectorELNS0_4arch9wavefront6targetE0EEEvSF_.numbered_sgpr, 0
	.set _ZN7rocprim17ROCPRIM_400000_NS6detail17trampoline_kernelINS0_14default_configENS1_22reduce_config_selectorI18summary_stats_dataIfEEEZNS1_11reduce_implILb1ES3_PS6_S9_S6_23summary_stats_binary_opIfEEE10hipError_tPvRmT1_T2_T3_mT4_P12ihipStream_tbEUlT_E0_NS1_11comp_targetILNS1_3genE10ELNS1_11target_archE1201ELNS1_3gpuE5ELNS1_3repE0EEENS1_30default_config_static_selectorELNS0_4arch9wavefront6targetE0EEEvSF_.num_named_barrier, 0
	.set _ZN7rocprim17ROCPRIM_400000_NS6detail17trampoline_kernelINS0_14default_configENS1_22reduce_config_selectorI18summary_stats_dataIfEEEZNS1_11reduce_implILb1ES3_PS6_S9_S6_23summary_stats_binary_opIfEEE10hipError_tPvRmT1_T2_T3_mT4_P12ihipStream_tbEUlT_E0_NS1_11comp_targetILNS1_3genE10ELNS1_11target_archE1201ELNS1_3gpuE5ELNS1_3repE0EEENS1_30default_config_static_selectorELNS0_4arch9wavefront6targetE0EEEvSF_.private_seg_size, 0
	.set _ZN7rocprim17ROCPRIM_400000_NS6detail17trampoline_kernelINS0_14default_configENS1_22reduce_config_selectorI18summary_stats_dataIfEEEZNS1_11reduce_implILb1ES3_PS6_S9_S6_23summary_stats_binary_opIfEEE10hipError_tPvRmT1_T2_T3_mT4_P12ihipStream_tbEUlT_E0_NS1_11comp_targetILNS1_3genE10ELNS1_11target_archE1201ELNS1_3gpuE5ELNS1_3repE0EEENS1_30default_config_static_selectorELNS0_4arch9wavefront6targetE0EEEvSF_.uses_vcc, 0
	.set _ZN7rocprim17ROCPRIM_400000_NS6detail17trampoline_kernelINS0_14default_configENS1_22reduce_config_selectorI18summary_stats_dataIfEEEZNS1_11reduce_implILb1ES3_PS6_S9_S6_23summary_stats_binary_opIfEEE10hipError_tPvRmT1_T2_T3_mT4_P12ihipStream_tbEUlT_E0_NS1_11comp_targetILNS1_3genE10ELNS1_11target_archE1201ELNS1_3gpuE5ELNS1_3repE0EEENS1_30default_config_static_selectorELNS0_4arch9wavefront6targetE0EEEvSF_.uses_flat_scratch, 0
	.set _ZN7rocprim17ROCPRIM_400000_NS6detail17trampoline_kernelINS0_14default_configENS1_22reduce_config_selectorI18summary_stats_dataIfEEEZNS1_11reduce_implILb1ES3_PS6_S9_S6_23summary_stats_binary_opIfEEE10hipError_tPvRmT1_T2_T3_mT4_P12ihipStream_tbEUlT_E0_NS1_11comp_targetILNS1_3genE10ELNS1_11target_archE1201ELNS1_3gpuE5ELNS1_3repE0EEENS1_30default_config_static_selectorELNS0_4arch9wavefront6targetE0EEEvSF_.has_dyn_sized_stack, 0
	.set _ZN7rocprim17ROCPRIM_400000_NS6detail17trampoline_kernelINS0_14default_configENS1_22reduce_config_selectorI18summary_stats_dataIfEEEZNS1_11reduce_implILb1ES3_PS6_S9_S6_23summary_stats_binary_opIfEEE10hipError_tPvRmT1_T2_T3_mT4_P12ihipStream_tbEUlT_E0_NS1_11comp_targetILNS1_3genE10ELNS1_11target_archE1201ELNS1_3gpuE5ELNS1_3repE0EEENS1_30default_config_static_selectorELNS0_4arch9wavefront6targetE0EEEvSF_.has_recursion, 0
	.set _ZN7rocprim17ROCPRIM_400000_NS6detail17trampoline_kernelINS0_14default_configENS1_22reduce_config_selectorI18summary_stats_dataIfEEEZNS1_11reduce_implILb1ES3_PS6_S9_S6_23summary_stats_binary_opIfEEE10hipError_tPvRmT1_T2_T3_mT4_P12ihipStream_tbEUlT_E0_NS1_11comp_targetILNS1_3genE10ELNS1_11target_archE1201ELNS1_3gpuE5ELNS1_3repE0EEENS1_30default_config_static_selectorELNS0_4arch9wavefront6targetE0EEEvSF_.has_indirect_call, 0
	.section	.AMDGPU.csdata,"",@progbits
; Kernel info:
; codeLenInByte = 0
; TotalNumSgprs: 0
; NumVgprs: 0
; ScratchSize: 0
; MemoryBound: 0
; FloatMode: 240
; IeeeMode: 1
; LDSByteSize: 0 bytes/workgroup (compile time only)
; SGPRBlocks: 0
; VGPRBlocks: 0
; NumSGPRsForWavesPerEU: 1
; NumVGPRsForWavesPerEU: 1
; Occupancy: 16
; WaveLimiterHint : 0
; COMPUTE_PGM_RSRC2:SCRATCH_EN: 0
; COMPUTE_PGM_RSRC2:USER_SGPR: 6
; COMPUTE_PGM_RSRC2:TRAP_HANDLER: 0
; COMPUTE_PGM_RSRC2:TGID_X_EN: 1
; COMPUTE_PGM_RSRC2:TGID_Y_EN: 0
; COMPUTE_PGM_RSRC2:TGID_Z_EN: 0
; COMPUTE_PGM_RSRC2:TIDIG_COMP_CNT: 0
	.section	.text._ZN7rocprim17ROCPRIM_400000_NS6detail17trampoline_kernelINS0_14default_configENS1_22reduce_config_selectorI18summary_stats_dataIfEEEZNS1_11reduce_implILb1ES3_PS6_S9_S6_23summary_stats_binary_opIfEEE10hipError_tPvRmT1_T2_T3_mT4_P12ihipStream_tbEUlT_E0_NS1_11comp_targetILNS1_3genE10ELNS1_11target_archE1200ELNS1_3gpuE4ELNS1_3repE0EEENS1_30default_config_static_selectorELNS0_4arch9wavefront6targetE0EEEvSF_,"axG",@progbits,_ZN7rocprim17ROCPRIM_400000_NS6detail17trampoline_kernelINS0_14default_configENS1_22reduce_config_selectorI18summary_stats_dataIfEEEZNS1_11reduce_implILb1ES3_PS6_S9_S6_23summary_stats_binary_opIfEEE10hipError_tPvRmT1_T2_T3_mT4_P12ihipStream_tbEUlT_E0_NS1_11comp_targetILNS1_3genE10ELNS1_11target_archE1200ELNS1_3gpuE4ELNS1_3repE0EEENS1_30default_config_static_selectorELNS0_4arch9wavefront6targetE0EEEvSF_,comdat
	.protected	_ZN7rocprim17ROCPRIM_400000_NS6detail17trampoline_kernelINS0_14default_configENS1_22reduce_config_selectorI18summary_stats_dataIfEEEZNS1_11reduce_implILb1ES3_PS6_S9_S6_23summary_stats_binary_opIfEEE10hipError_tPvRmT1_T2_T3_mT4_P12ihipStream_tbEUlT_E0_NS1_11comp_targetILNS1_3genE10ELNS1_11target_archE1200ELNS1_3gpuE4ELNS1_3repE0EEENS1_30default_config_static_selectorELNS0_4arch9wavefront6targetE0EEEvSF_ ; -- Begin function _ZN7rocprim17ROCPRIM_400000_NS6detail17trampoline_kernelINS0_14default_configENS1_22reduce_config_selectorI18summary_stats_dataIfEEEZNS1_11reduce_implILb1ES3_PS6_S9_S6_23summary_stats_binary_opIfEEE10hipError_tPvRmT1_T2_T3_mT4_P12ihipStream_tbEUlT_E0_NS1_11comp_targetILNS1_3genE10ELNS1_11target_archE1200ELNS1_3gpuE4ELNS1_3repE0EEENS1_30default_config_static_selectorELNS0_4arch9wavefront6targetE0EEEvSF_
	.globl	_ZN7rocprim17ROCPRIM_400000_NS6detail17trampoline_kernelINS0_14default_configENS1_22reduce_config_selectorI18summary_stats_dataIfEEEZNS1_11reduce_implILb1ES3_PS6_S9_S6_23summary_stats_binary_opIfEEE10hipError_tPvRmT1_T2_T3_mT4_P12ihipStream_tbEUlT_E0_NS1_11comp_targetILNS1_3genE10ELNS1_11target_archE1200ELNS1_3gpuE4ELNS1_3repE0EEENS1_30default_config_static_selectorELNS0_4arch9wavefront6targetE0EEEvSF_
	.p2align	8
	.type	_ZN7rocprim17ROCPRIM_400000_NS6detail17trampoline_kernelINS0_14default_configENS1_22reduce_config_selectorI18summary_stats_dataIfEEEZNS1_11reduce_implILb1ES3_PS6_S9_S6_23summary_stats_binary_opIfEEE10hipError_tPvRmT1_T2_T3_mT4_P12ihipStream_tbEUlT_E0_NS1_11comp_targetILNS1_3genE10ELNS1_11target_archE1200ELNS1_3gpuE4ELNS1_3repE0EEENS1_30default_config_static_selectorELNS0_4arch9wavefront6targetE0EEEvSF_,@function
_ZN7rocprim17ROCPRIM_400000_NS6detail17trampoline_kernelINS0_14default_configENS1_22reduce_config_selectorI18summary_stats_dataIfEEEZNS1_11reduce_implILb1ES3_PS6_S9_S6_23summary_stats_binary_opIfEEE10hipError_tPvRmT1_T2_T3_mT4_P12ihipStream_tbEUlT_E0_NS1_11comp_targetILNS1_3genE10ELNS1_11target_archE1200ELNS1_3gpuE4ELNS1_3repE0EEENS1_30default_config_static_selectorELNS0_4arch9wavefront6targetE0EEEvSF_: ; @_ZN7rocprim17ROCPRIM_400000_NS6detail17trampoline_kernelINS0_14default_configENS1_22reduce_config_selectorI18summary_stats_dataIfEEEZNS1_11reduce_implILb1ES3_PS6_S9_S6_23summary_stats_binary_opIfEEE10hipError_tPvRmT1_T2_T3_mT4_P12ihipStream_tbEUlT_E0_NS1_11comp_targetILNS1_3genE10ELNS1_11target_archE1200ELNS1_3gpuE4ELNS1_3repE0EEENS1_30default_config_static_selectorELNS0_4arch9wavefront6targetE0EEEvSF_
; %bb.0:
	.section	.rodata,"a",@progbits
	.p2align	6, 0x0
	.amdhsa_kernel _ZN7rocprim17ROCPRIM_400000_NS6detail17trampoline_kernelINS0_14default_configENS1_22reduce_config_selectorI18summary_stats_dataIfEEEZNS1_11reduce_implILb1ES3_PS6_S9_S6_23summary_stats_binary_opIfEEE10hipError_tPvRmT1_T2_T3_mT4_P12ihipStream_tbEUlT_E0_NS1_11comp_targetILNS1_3genE10ELNS1_11target_archE1200ELNS1_3gpuE4ELNS1_3repE0EEENS1_30default_config_static_selectorELNS0_4arch9wavefront6targetE0EEEvSF_
		.amdhsa_group_segment_fixed_size 0
		.amdhsa_private_segment_fixed_size 0
		.amdhsa_kernarg_size 80
		.amdhsa_user_sgpr_count 6
		.amdhsa_user_sgpr_private_segment_buffer 1
		.amdhsa_user_sgpr_dispatch_ptr 0
		.amdhsa_user_sgpr_queue_ptr 0
		.amdhsa_user_sgpr_kernarg_segment_ptr 1
		.amdhsa_user_sgpr_dispatch_id 0
		.amdhsa_user_sgpr_flat_scratch_init 0
		.amdhsa_user_sgpr_private_segment_size 0
		.amdhsa_wavefront_size32 1
		.amdhsa_uses_dynamic_stack 0
		.amdhsa_system_sgpr_private_segment_wavefront_offset 0
		.amdhsa_system_sgpr_workgroup_id_x 1
		.amdhsa_system_sgpr_workgroup_id_y 0
		.amdhsa_system_sgpr_workgroup_id_z 0
		.amdhsa_system_sgpr_workgroup_info 0
		.amdhsa_system_vgpr_workitem_id 0
		.amdhsa_next_free_vgpr 1
		.amdhsa_next_free_sgpr 1
		.amdhsa_reserve_vcc 0
		.amdhsa_reserve_flat_scratch 0
		.amdhsa_float_round_mode_32 0
		.amdhsa_float_round_mode_16_64 0
		.amdhsa_float_denorm_mode_32 3
		.amdhsa_float_denorm_mode_16_64 3
		.amdhsa_dx10_clamp 1
		.amdhsa_ieee_mode 1
		.amdhsa_fp16_overflow 0
		.amdhsa_workgroup_processor_mode 1
		.amdhsa_memory_ordered 1
		.amdhsa_forward_progress 1
		.amdhsa_shared_vgpr_count 0
		.amdhsa_exception_fp_ieee_invalid_op 0
		.amdhsa_exception_fp_denorm_src 0
		.amdhsa_exception_fp_ieee_div_zero 0
		.amdhsa_exception_fp_ieee_overflow 0
		.amdhsa_exception_fp_ieee_underflow 0
		.amdhsa_exception_fp_ieee_inexact 0
		.amdhsa_exception_int_div_zero 0
	.end_amdhsa_kernel
	.section	.text._ZN7rocprim17ROCPRIM_400000_NS6detail17trampoline_kernelINS0_14default_configENS1_22reduce_config_selectorI18summary_stats_dataIfEEEZNS1_11reduce_implILb1ES3_PS6_S9_S6_23summary_stats_binary_opIfEEE10hipError_tPvRmT1_T2_T3_mT4_P12ihipStream_tbEUlT_E0_NS1_11comp_targetILNS1_3genE10ELNS1_11target_archE1200ELNS1_3gpuE4ELNS1_3repE0EEENS1_30default_config_static_selectorELNS0_4arch9wavefront6targetE0EEEvSF_,"axG",@progbits,_ZN7rocprim17ROCPRIM_400000_NS6detail17trampoline_kernelINS0_14default_configENS1_22reduce_config_selectorI18summary_stats_dataIfEEEZNS1_11reduce_implILb1ES3_PS6_S9_S6_23summary_stats_binary_opIfEEE10hipError_tPvRmT1_T2_T3_mT4_P12ihipStream_tbEUlT_E0_NS1_11comp_targetILNS1_3genE10ELNS1_11target_archE1200ELNS1_3gpuE4ELNS1_3repE0EEENS1_30default_config_static_selectorELNS0_4arch9wavefront6targetE0EEEvSF_,comdat
.Lfunc_end6:
	.size	_ZN7rocprim17ROCPRIM_400000_NS6detail17trampoline_kernelINS0_14default_configENS1_22reduce_config_selectorI18summary_stats_dataIfEEEZNS1_11reduce_implILb1ES3_PS6_S9_S6_23summary_stats_binary_opIfEEE10hipError_tPvRmT1_T2_T3_mT4_P12ihipStream_tbEUlT_E0_NS1_11comp_targetILNS1_3genE10ELNS1_11target_archE1200ELNS1_3gpuE4ELNS1_3repE0EEENS1_30default_config_static_selectorELNS0_4arch9wavefront6targetE0EEEvSF_, .Lfunc_end6-_ZN7rocprim17ROCPRIM_400000_NS6detail17trampoline_kernelINS0_14default_configENS1_22reduce_config_selectorI18summary_stats_dataIfEEEZNS1_11reduce_implILb1ES3_PS6_S9_S6_23summary_stats_binary_opIfEEE10hipError_tPvRmT1_T2_T3_mT4_P12ihipStream_tbEUlT_E0_NS1_11comp_targetILNS1_3genE10ELNS1_11target_archE1200ELNS1_3gpuE4ELNS1_3repE0EEENS1_30default_config_static_selectorELNS0_4arch9wavefront6targetE0EEEvSF_
                                        ; -- End function
	.set _ZN7rocprim17ROCPRIM_400000_NS6detail17trampoline_kernelINS0_14default_configENS1_22reduce_config_selectorI18summary_stats_dataIfEEEZNS1_11reduce_implILb1ES3_PS6_S9_S6_23summary_stats_binary_opIfEEE10hipError_tPvRmT1_T2_T3_mT4_P12ihipStream_tbEUlT_E0_NS1_11comp_targetILNS1_3genE10ELNS1_11target_archE1200ELNS1_3gpuE4ELNS1_3repE0EEENS1_30default_config_static_selectorELNS0_4arch9wavefront6targetE0EEEvSF_.num_vgpr, 0
	.set _ZN7rocprim17ROCPRIM_400000_NS6detail17trampoline_kernelINS0_14default_configENS1_22reduce_config_selectorI18summary_stats_dataIfEEEZNS1_11reduce_implILb1ES3_PS6_S9_S6_23summary_stats_binary_opIfEEE10hipError_tPvRmT1_T2_T3_mT4_P12ihipStream_tbEUlT_E0_NS1_11comp_targetILNS1_3genE10ELNS1_11target_archE1200ELNS1_3gpuE4ELNS1_3repE0EEENS1_30default_config_static_selectorELNS0_4arch9wavefront6targetE0EEEvSF_.num_agpr, 0
	.set _ZN7rocprim17ROCPRIM_400000_NS6detail17trampoline_kernelINS0_14default_configENS1_22reduce_config_selectorI18summary_stats_dataIfEEEZNS1_11reduce_implILb1ES3_PS6_S9_S6_23summary_stats_binary_opIfEEE10hipError_tPvRmT1_T2_T3_mT4_P12ihipStream_tbEUlT_E0_NS1_11comp_targetILNS1_3genE10ELNS1_11target_archE1200ELNS1_3gpuE4ELNS1_3repE0EEENS1_30default_config_static_selectorELNS0_4arch9wavefront6targetE0EEEvSF_.numbered_sgpr, 0
	.set _ZN7rocprim17ROCPRIM_400000_NS6detail17trampoline_kernelINS0_14default_configENS1_22reduce_config_selectorI18summary_stats_dataIfEEEZNS1_11reduce_implILb1ES3_PS6_S9_S6_23summary_stats_binary_opIfEEE10hipError_tPvRmT1_T2_T3_mT4_P12ihipStream_tbEUlT_E0_NS1_11comp_targetILNS1_3genE10ELNS1_11target_archE1200ELNS1_3gpuE4ELNS1_3repE0EEENS1_30default_config_static_selectorELNS0_4arch9wavefront6targetE0EEEvSF_.num_named_barrier, 0
	.set _ZN7rocprim17ROCPRIM_400000_NS6detail17trampoline_kernelINS0_14default_configENS1_22reduce_config_selectorI18summary_stats_dataIfEEEZNS1_11reduce_implILb1ES3_PS6_S9_S6_23summary_stats_binary_opIfEEE10hipError_tPvRmT1_T2_T3_mT4_P12ihipStream_tbEUlT_E0_NS1_11comp_targetILNS1_3genE10ELNS1_11target_archE1200ELNS1_3gpuE4ELNS1_3repE0EEENS1_30default_config_static_selectorELNS0_4arch9wavefront6targetE0EEEvSF_.private_seg_size, 0
	.set _ZN7rocprim17ROCPRIM_400000_NS6detail17trampoline_kernelINS0_14default_configENS1_22reduce_config_selectorI18summary_stats_dataIfEEEZNS1_11reduce_implILb1ES3_PS6_S9_S6_23summary_stats_binary_opIfEEE10hipError_tPvRmT1_T2_T3_mT4_P12ihipStream_tbEUlT_E0_NS1_11comp_targetILNS1_3genE10ELNS1_11target_archE1200ELNS1_3gpuE4ELNS1_3repE0EEENS1_30default_config_static_selectorELNS0_4arch9wavefront6targetE0EEEvSF_.uses_vcc, 0
	.set _ZN7rocprim17ROCPRIM_400000_NS6detail17trampoline_kernelINS0_14default_configENS1_22reduce_config_selectorI18summary_stats_dataIfEEEZNS1_11reduce_implILb1ES3_PS6_S9_S6_23summary_stats_binary_opIfEEE10hipError_tPvRmT1_T2_T3_mT4_P12ihipStream_tbEUlT_E0_NS1_11comp_targetILNS1_3genE10ELNS1_11target_archE1200ELNS1_3gpuE4ELNS1_3repE0EEENS1_30default_config_static_selectorELNS0_4arch9wavefront6targetE0EEEvSF_.uses_flat_scratch, 0
	.set _ZN7rocprim17ROCPRIM_400000_NS6detail17trampoline_kernelINS0_14default_configENS1_22reduce_config_selectorI18summary_stats_dataIfEEEZNS1_11reduce_implILb1ES3_PS6_S9_S6_23summary_stats_binary_opIfEEE10hipError_tPvRmT1_T2_T3_mT4_P12ihipStream_tbEUlT_E0_NS1_11comp_targetILNS1_3genE10ELNS1_11target_archE1200ELNS1_3gpuE4ELNS1_3repE0EEENS1_30default_config_static_selectorELNS0_4arch9wavefront6targetE0EEEvSF_.has_dyn_sized_stack, 0
	.set _ZN7rocprim17ROCPRIM_400000_NS6detail17trampoline_kernelINS0_14default_configENS1_22reduce_config_selectorI18summary_stats_dataIfEEEZNS1_11reduce_implILb1ES3_PS6_S9_S6_23summary_stats_binary_opIfEEE10hipError_tPvRmT1_T2_T3_mT4_P12ihipStream_tbEUlT_E0_NS1_11comp_targetILNS1_3genE10ELNS1_11target_archE1200ELNS1_3gpuE4ELNS1_3repE0EEENS1_30default_config_static_selectorELNS0_4arch9wavefront6targetE0EEEvSF_.has_recursion, 0
	.set _ZN7rocprim17ROCPRIM_400000_NS6detail17trampoline_kernelINS0_14default_configENS1_22reduce_config_selectorI18summary_stats_dataIfEEEZNS1_11reduce_implILb1ES3_PS6_S9_S6_23summary_stats_binary_opIfEEE10hipError_tPvRmT1_T2_T3_mT4_P12ihipStream_tbEUlT_E0_NS1_11comp_targetILNS1_3genE10ELNS1_11target_archE1200ELNS1_3gpuE4ELNS1_3repE0EEENS1_30default_config_static_selectorELNS0_4arch9wavefront6targetE0EEEvSF_.has_indirect_call, 0
	.section	.AMDGPU.csdata,"",@progbits
; Kernel info:
; codeLenInByte = 0
; TotalNumSgprs: 0
; NumVgprs: 0
; ScratchSize: 0
; MemoryBound: 0
; FloatMode: 240
; IeeeMode: 1
; LDSByteSize: 0 bytes/workgroup (compile time only)
; SGPRBlocks: 0
; VGPRBlocks: 0
; NumSGPRsForWavesPerEU: 1
; NumVGPRsForWavesPerEU: 1
; Occupancy: 16
; WaveLimiterHint : 0
; COMPUTE_PGM_RSRC2:SCRATCH_EN: 0
; COMPUTE_PGM_RSRC2:USER_SGPR: 6
; COMPUTE_PGM_RSRC2:TRAP_HANDLER: 0
; COMPUTE_PGM_RSRC2:TGID_X_EN: 1
; COMPUTE_PGM_RSRC2:TGID_Y_EN: 0
; COMPUTE_PGM_RSRC2:TGID_Z_EN: 0
; COMPUTE_PGM_RSRC2:TIDIG_COMP_CNT: 0
	.section	.text._ZN7rocprim17ROCPRIM_400000_NS6detail17trampoline_kernelINS0_14default_configENS1_22reduce_config_selectorI18summary_stats_dataIfEEEZNS1_11reduce_implILb1ES3_PS6_S9_S6_23summary_stats_binary_opIfEEE10hipError_tPvRmT1_T2_T3_mT4_P12ihipStream_tbEUlT_E0_NS1_11comp_targetILNS1_3genE9ELNS1_11target_archE1100ELNS1_3gpuE3ELNS1_3repE0EEENS1_30default_config_static_selectorELNS0_4arch9wavefront6targetE0EEEvSF_,"axG",@progbits,_ZN7rocprim17ROCPRIM_400000_NS6detail17trampoline_kernelINS0_14default_configENS1_22reduce_config_selectorI18summary_stats_dataIfEEEZNS1_11reduce_implILb1ES3_PS6_S9_S6_23summary_stats_binary_opIfEEE10hipError_tPvRmT1_T2_T3_mT4_P12ihipStream_tbEUlT_E0_NS1_11comp_targetILNS1_3genE9ELNS1_11target_archE1100ELNS1_3gpuE3ELNS1_3repE0EEENS1_30default_config_static_selectorELNS0_4arch9wavefront6targetE0EEEvSF_,comdat
	.protected	_ZN7rocprim17ROCPRIM_400000_NS6detail17trampoline_kernelINS0_14default_configENS1_22reduce_config_selectorI18summary_stats_dataIfEEEZNS1_11reduce_implILb1ES3_PS6_S9_S6_23summary_stats_binary_opIfEEE10hipError_tPvRmT1_T2_T3_mT4_P12ihipStream_tbEUlT_E0_NS1_11comp_targetILNS1_3genE9ELNS1_11target_archE1100ELNS1_3gpuE3ELNS1_3repE0EEENS1_30default_config_static_selectorELNS0_4arch9wavefront6targetE0EEEvSF_ ; -- Begin function _ZN7rocprim17ROCPRIM_400000_NS6detail17trampoline_kernelINS0_14default_configENS1_22reduce_config_selectorI18summary_stats_dataIfEEEZNS1_11reduce_implILb1ES3_PS6_S9_S6_23summary_stats_binary_opIfEEE10hipError_tPvRmT1_T2_T3_mT4_P12ihipStream_tbEUlT_E0_NS1_11comp_targetILNS1_3genE9ELNS1_11target_archE1100ELNS1_3gpuE3ELNS1_3repE0EEENS1_30default_config_static_selectorELNS0_4arch9wavefront6targetE0EEEvSF_
	.globl	_ZN7rocprim17ROCPRIM_400000_NS6detail17trampoline_kernelINS0_14default_configENS1_22reduce_config_selectorI18summary_stats_dataIfEEEZNS1_11reduce_implILb1ES3_PS6_S9_S6_23summary_stats_binary_opIfEEE10hipError_tPvRmT1_T2_T3_mT4_P12ihipStream_tbEUlT_E0_NS1_11comp_targetILNS1_3genE9ELNS1_11target_archE1100ELNS1_3gpuE3ELNS1_3repE0EEENS1_30default_config_static_selectorELNS0_4arch9wavefront6targetE0EEEvSF_
	.p2align	8
	.type	_ZN7rocprim17ROCPRIM_400000_NS6detail17trampoline_kernelINS0_14default_configENS1_22reduce_config_selectorI18summary_stats_dataIfEEEZNS1_11reduce_implILb1ES3_PS6_S9_S6_23summary_stats_binary_opIfEEE10hipError_tPvRmT1_T2_T3_mT4_P12ihipStream_tbEUlT_E0_NS1_11comp_targetILNS1_3genE9ELNS1_11target_archE1100ELNS1_3gpuE3ELNS1_3repE0EEENS1_30default_config_static_selectorELNS0_4arch9wavefront6targetE0EEEvSF_,@function
_ZN7rocprim17ROCPRIM_400000_NS6detail17trampoline_kernelINS0_14default_configENS1_22reduce_config_selectorI18summary_stats_dataIfEEEZNS1_11reduce_implILb1ES3_PS6_S9_S6_23summary_stats_binary_opIfEEE10hipError_tPvRmT1_T2_T3_mT4_P12ihipStream_tbEUlT_E0_NS1_11comp_targetILNS1_3genE9ELNS1_11target_archE1100ELNS1_3gpuE3ELNS1_3repE0EEENS1_30default_config_static_selectorELNS0_4arch9wavefront6targetE0EEEvSF_: ; @_ZN7rocprim17ROCPRIM_400000_NS6detail17trampoline_kernelINS0_14default_configENS1_22reduce_config_selectorI18summary_stats_dataIfEEEZNS1_11reduce_implILb1ES3_PS6_S9_S6_23summary_stats_binary_opIfEEE10hipError_tPvRmT1_T2_T3_mT4_P12ihipStream_tbEUlT_E0_NS1_11comp_targetILNS1_3genE9ELNS1_11target_archE1100ELNS1_3gpuE3ELNS1_3repE0EEENS1_30default_config_static_selectorELNS0_4arch9wavefront6targetE0EEEvSF_
; %bb.0:
	.section	.rodata,"a",@progbits
	.p2align	6, 0x0
	.amdhsa_kernel _ZN7rocprim17ROCPRIM_400000_NS6detail17trampoline_kernelINS0_14default_configENS1_22reduce_config_selectorI18summary_stats_dataIfEEEZNS1_11reduce_implILb1ES3_PS6_S9_S6_23summary_stats_binary_opIfEEE10hipError_tPvRmT1_T2_T3_mT4_P12ihipStream_tbEUlT_E0_NS1_11comp_targetILNS1_3genE9ELNS1_11target_archE1100ELNS1_3gpuE3ELNS1_3repE0EEENS1_30default_config_static_selectorELNS0_4arch9wavefront6targetE0EEEvSF_
		.amdhsa_group_segment_fixed_size 0
		.amdhsa_private_segment_fixed_size 0
		.amdhsa_kernarg_size 80
		.amdhsa_user_sgpr_count 6
		.amdhsa_user_sgpr_private_segment_buffer 1
		.amdhsa_user_sgpr_dispatch_ptr 0
		.amdhsa_user_sgpr_queue_ptr 0
		.amdhsa_user_sgpr_kernarg_segment_ptr 1
		.amdhsa_user_sgpr_dispatch_id 0
		.amdhsa_user_sgpr_flat_scratch_init 0
		.amdhsa_user_sgpr_private_segment_size 0
		.amdhsa_wavefront_size32 1
		.amdhsa_uses_dynamic_stack 0
		.amdhsa_system_sgpr_private_segment_wavefront_offset 0
		.amdhsa_system_sgpr_workgroup_id_x 1
		.amdhsa_system_sgpr_workgroup_id_y 0
		.amdhsa_system_sgpr_workgroup_id_z 0
		.amdhsa_system_sgpr_workgroup_info 0
		.amdhsa_system_vgpr_workitem_id 0
		.amdhsa_next_free_vgpr 1
		.amdhsa_next_free_sgpr 1
		.amdhsa_reserve_vcc 0
		.amdhsa_reserve_flat_scratch 0
		.amdhsa_float_round_mode_32 0
		.amdhsa_float_round_mode_16_64 0
		.amdhsa_float_denorm_mode_32 3
		.amdhsa_float_denorm_mode_16_64 3
		.amdhsa_dx10_clamp 1
		.amdhsa_ieee_mode 1
		.amdhsa_fp16_overflow 0
		.amdhsa_workgroup_processor_mode 1
		.amdhsa_memory_ordered 1
		.amdhsa_forward_progress 1
		.amdhsa_shared_vgpr_count 0
		.amdhsa_exception_fp_ieee_invalid_op 0
		.amdhsa_exception_fp_denorm_src 0
		.amdhsa_exception_fp_ieee_div_zero 0
		.amdhsa_exception_fp_ieee_overflow 0
		.amdhsa_exception_fp_ieee_underflow 0
		.amdhsa_exception_fp_ieee_inexact 0
		.amdhsa_exception_int_div_zero 0
	.end_amdhsa_kernel
	.section	.text._ZN7rocprim17ROCPRIM_400000_NS6detail17trampoline_kernelINS0_14default_configENS1_22reduce_config_selectorI18summary_stats_dataIfEEEZNS1_11reduce_implILb1ES3_PS6_S9_S6_23summary_stats_binary_opIfEEE10hipError_tPvRmT1_T2_T3_mT4_P12ihipStream_tbEUlT_E0_NS1_11comp_targetILNS1_3genE9ELNS1_11target_archE1100ELNS1_3gpuE3ELNS1_3repE0EEENS1_30default_config_static_selectorELNS0_4arch9wavefront6targetE0EEEvSF_,"axG",@progbits,_ZN7rocprim17ROCPRIM_400000_NS6detail17trampoline_kernelINS0_14default_configENS1_22reduce_config_selectorI18summary_stats_dataIfEEEZNS1_11reduce_implILb1ES3_PS6_S9_S6_23summary_stats_binary_opIfEEE10hipError_tPvRmT1_T2_T3_mT4_P12ihipStream_tbEUlT_E0_NS1_11comp_targetILNS1_3genE9ELNS1_11target_archE1100ELNS1_3gpuE3ELNS1_3repE0EEENS1_30default_config_static_selectorELNS0_4arch9wavefront6targetE0EEEvSF_,comdat
.Lfunc_end7:
	.size	_ZN7rocprim17ROCPRIM_400000_NS6detail17trampoline_kernelINS0_14default_configENS1_22reduce_config_selectorI18summary_stats_dataIfEEEZNS1_11reduce_implILb1ES3_PS6_S9_S6_23summary_stats_binary_opIfEEE10hipError_tPvRmT1_T2_T3_mT4_P12ihipStream_tbEUlT_E0_NS1_11comp_targetILNS1_3genE9ELNS1_11target_archE1100ELNS1_3gpuE3ELNS1_3repE0EEENS1_30default_config_static_selectorELNS0_4arch9wavefront6targetE0EEEvSF_, .Lfunc_end7-_ZN7rocprim17ROCPRIM_400000_NS6detail17trampoline_kernelINS0_14default_configENS1_22reduce_config_selectorI18summary_stats_dataIfEEEZNS1_11reduce_implILb1ES3_PS6_S9_S6_23summary_stats_binary_opIfEEE10hipError_tPvRmT1_T2_T3_mT4_P12ihipStream_tbEUlT_E0_NS1_11comp_targetILNS1_3genE9ELNS1_11target_archE1100ELNS1_3gpuE3ELNS1_3repE0EEENS1_30default_config_static_selectorELNS0_4arch9wavefront6targetE0EEEvSF_
                                        ; -- End function
	.set _ZN7rocprim17ROCPRIM_400000_NS6detail17trampoline_kernelINS0_14default_configENS1_22reduce_config_selectorI18summary_stats_dataIfEEEZNS1_11reduce_implILb1ES3_PS6_S9_S6_23summary_stats_binary_opIfEEE10hipError_tPvRmT1_T2_T3_mT4_P12ihipStream_tbEUlT_E0_NS1_11comp_targetILNS1_3genE9ELNS1_11target_archE1100ELNS1_3gpuE3ELNS1_3repE0EEENS1_30default_config_static_selectorELNS0_4arch9wavefront6targetE0EEEvSF_.num_vgpr, 0
	.set _ZN7rocprim17ROCPRIM_400000_NS6detail17trampoline_kernelINS0_14default_configENS1_22reduce_config_selectorI18summary_stats_dataIfEEEZNS1_11reduce_implILb1ES3_PS6_S9_S6_23summary_stats_binary_opIfEEE10hipError_tPvRmT1_T2_T3_mT4_P12ihipStream_tbEUlT_E0_NS1_11comp_targetILNS1_3genE9ELNS1_11target_archE1100ELNS1_3gpuE3ELNS1_3repE0EEENS1_30default_config_static_selectorELNS0_4arch9wavefront6targetE0EEEvSF_.num_agpr, 0
	.set _ZN7rocprim17ROCPRIM_400000_NS6detail17trampoline_kernelINS0_14default_configENS1_22reduce_config_selectorI18summary_stats_dataIfEEEZNS1_11reduce_implILb1ES3_PS6_S9_S6_23summary_stats_binary_opIfEEE10hipError_tPvRmT1_T2_T3_mT4_P12ihipStream_tbEUlT_E0_NS1_11comp_targetILNS1_3genE9ELNS1_11target_archE1100ELNS1_3gpuE3ELNS1_3repE0EEENS1_30default_config_static_selectorELNS0_4arch9wavefront6targetE0EEEvSF_.numbered_sgpr, 0
	.set _ZN7rocprim17ROCPRIM_400000_NS6detail17trampoline_kernelINS0_14default_configENS1_22reduce_config_selectorI18summary_stats_dataIfEEEZNS1_11reduce_implILb1ES3_PS6_S9_S6_23summary_stats_binary_opIfEEE10hipError_tPvRmT1_T2_T3_mT4_P12ihipStream_tbEUlT_E0_NS1_11comp_targetILNS1_3genE9ELNS1_11target_archE1100ELNS1_3gpuE3ELNS1_3repE0EEENS1_30default_config_static_selectorELNS0_4arch9wavefront6targetE0EEEvSF_.num_named_barrier, 0
	.set _ZN7rocprim17ROCPRIM_400000_NS6detail17trampoline_kernelINS0_14default_configENS1_22reduce_config_selectorI18summary_stats_dataIfEEEZNS1_11reduce_implILb1ES3_PS6_S9_S6_23summary_stats_binary_opIfEEE10hipError_tPvRmT1_T2_T3_mT4_P12ihipStream_tbEUlT_E0_NS1_11comp_targetILNS1_3genE9ELNS1_11target_archE1100ELNS1_3gpuE3ELNS1_3repE0EEENS1_30default_config_static_selectorELNS0_4arch9wavefront6targetE0EEEvSF_.private_seg_size, 0
	.set _ZN7rocprim17ROCPRIM_400000_NS6detail17trampoline_kernelINS0_14default_configENS1_22reduce_config_selectorI18summary_stats_dataIfEEEZNS1_11reduce_implILb1ES3_PS6_S9_S6_23summary_stats_binary_opIfEEE10hipError_tPvRmT1_T2_T3_mT4_P12ihipStream_tbEUlT_E0_NS1_11comp_targetILNS1_3genE9ELNS1_11target_archE1100ELNS1_3gpuE3ELNS1_3repE0EEENS1_30default_config_static_selectorELNS0_4arch9wavefront6targetE0EEEvSF_.uses_vcc, 0
	.set _ZN7rocprim17ROCPRIM_400000_NS6detail17trampoline_kernelINS0_14default_configENS1_22reduce_config_selectorI18summary_stats_dataIfEEEZNS1_11reduce_implILb1ES3_PS6_S9_S6_23summary_stats_binary_opIfEEE10hipError_tPvRmT1_T2_T3_mT4_P12ihipStream_tbEUlT_E0_NS1_11comp_targetILNS1_3genE9ELNS1_11target_archE1100ELNS1_3gpuE3ELNS1_3repE0EEENS1_30default_config_static_selectorELNS0_4arch9wavefront6targetE0EEEvSF_.uses_flat_scratch, 0
	.set _ZN7rocprim17ROCPRIM_400000_NS6detail17trampoline_kernelINS0_14default_configENS1_22reduce_config_selectorI18summary_stats_dataIfEEEZNS1_11reduce_implILb1ES3_PS6_S9_S6_23summary_stats_binary_opIfEEE10hipError_tPvRmT1_T2_T3_mT4_P12ihipStream_tbEUlT_E0_NS1_11comp_targetILNS1_3genE9ELNS1_11target_archE1100ELNS1_3gpuE3ELNS1_3repE0EEENS1_30default_config_static_selectorELNS0_4arch9wavefront6targetE0EEEvSF_.has_dyn_sized_stack, 0
	.set _ZN7rocprim17ROCPRIM_400000_NS6detail17trampoline_kernelINS0_14default_configENS1_22reduce_config_selectorI18summary_stats_dataIfEEEZNS1_11reduce_implILb1ES3_PS6_S9_S6_23summary_stats_binary_opIfEEE10hipError_tPvRmT1_T2_T3_mT4_P12ihipStream_tbEUlT_E0_NS1_11comp_targetILNS1_3genE9ELNS1_11target_archE1100ELNS1_3gpuE3ELNS1_3repE0EEENS1_30default_config_static_selectorELNS0_4arch9wavefront6targetE0EEEvSF_.has_recursion, 0
	.set _ZN7rocprim17ROCPRIM_400000_NS6detail17trampoline_kernelINS0_14default_configENS1_22reduce_config_selectorI18summary_stats_dataIfEEEZNS1_11reduce_implILb1ES3_PS6_S9_S6_23summary_stats_binary_opIfEEE10hipError_tPvRmT1_T2_T3_mT4_P12ihipStream_tbEUlT_E0_NS1_11comp_targetILNS1_3genE9ELNS1_11target_archE1100ELNS1_3gpuE3ELNS1_3repE0EEENS1_30default_config_static_selectorELNS0_4arch9wavefront6targetE0EEEvSF_.has_indirect_call, 0
	.section	.AMDGPU.csdata,"",@progbits
; Kernel info:
; codeLenInByte = 0
; TotalNumSgprs: 0
; NumVgprs: 0
; ScratchSize: 0
; MemoryBound: 0
; FloatMode: 240
; IeeeMode: 1
; LDSByteSize: 0 bytes/workgroup (compile time only)
; SGPRBlocks: 0
; VGPRBlocks: 0
; NumSGPRsForWavesPerEU: 1
; NumVGPRsForWavesPerEU: 1
; Occupancy: 16
; WaveLimiterHint : 0
; COMPUTE_PGM_RSRC2:SCRATCH_EN: 0
; COMPUTE_PGM_RSRC2:USER_SGPR: 6
; COMPUTE_PGM_RSRC2:TRAP_HANDLER: 0
; COMPUTE_PGM_RSRC2:TGID_X_EN: 1
; COMPUTE_PGM_RSRC2:TGID_Y_EN: 0
; COMPUTE_PGM_RSRC2:TGID_Z_EN: 0
; COMPUTE_PGM_RSRC2:TIDIG_COMP_CNT: 0
	.section	.text._ZN7rocprim17ROCPRIM_400000_NS6detail17trampoline_kernelINS0_14default_configENS1_22reduce_config_selectorI18summary_stats_dataIfEEEZNS1_11reduce_implILb1ES3_PS6_S9_S6_23summary_stats_binary_opIfEEE10hipError_tPvRmT1_T2_T3_mT4_P12ihipStream_tbEUlT_E0_NS1_11comp_targetILNS1_3genE8ELNS1_11target_archE1030ELNS1_3gpuE2ELNS1_3repE0EEENS1_30default_config_static_selectorELNS0_4arch9wavefront6targetE0EEEvSF_,"axG",@progbits,_ZN7rocprim17ROCPRIM_400000_NS6detail17trampoline_kernelINS0_14default_configENS1_22reduce_config_selectorI18summary_stats_dataIfEEEZNS1_11reduce_implILb1ES3_PS6_S9_S6_23summary_stats_binary_opIfEEE10hipError_tPvRmT1_T2_T3_mT4_P12ihipStream_tbEUlT_E0_NS1_11comp_targetILNS1_3genE8ELNS1_11target_archE1030ELNS1_3gpuE2ELNS1_3repE0EEENS1_30default_config_static_selectorELNS0_4arch9wavefront6targetE0EEEvSF_,comdat
	.protected	_ZN7rocprim17ROCPRIM_400000_NS6detail17trampoline_kernelINS0_14default_configENS1_22reduce_config_selectorI18summary_stats_dataIfEEEZNS1_11reduce_implILb1ES3_PS6_S9_S6_23summary_stats_binary_opIfEEE10hipError_tPvRmT1_T2_T3_mT4_P12ihipStream_tbEUlT_E0_NS1_11comp_targetILNS1_3genE8ELNS1_11target_archE1030ELNS1_3gpuE2ELNS1_3repE0EEENS1_30default_config_static_selectorELNS0_4arch9wavefront6targetE0EEEvSF_ ; -- Begin function _ZN7rocprim17ROCPRIM_400000_NS6detail17trampoline_kernelINS0_14default_configENS1_22reduce_config_selectorI18summary_stats_dataIfEEEZNS1_11reduce_implILb1ES3_PS6_S9_S6_23summary_stats_binary_opIfEEE10hipError_tPvRmT1_T2_T3_mT4_P12ihipStream_tbEUlT_E0_NS1_11comp_targetILNS1_3genE8ELNS1_11target_archE1030ELNS1_3gpuE2ELNS1_3repE0EEENS1_30default_config_static_selectorELNS0_4arch9wavefront6targetE0EEEvSF_
	.globl	_ZN7rocprim17ROCPRIM_400000_NS6detail17trampoline_kernelINS0_14default_configENS1_22reduce_config_selectorI18summary_stats_dataIfEEEZNS1_11reduce_implILb1ES3_PS6_S9_S6_23summary_stats_binary_opIfEEE10hipError_tPvRmT1_T2_T3_mT4_P12ihipStream_tbEUlT_E0_NS1_11comp_targetILNS1_3genE8ELNS1_11target_archE1030ELNS1_3gpuE2ELNS1_3repE0EEENS1_30default_config_static_selectorELNS0_4arch9wavefront6targetE0EEEvSF_
	.p2align	8
	.type	_ZN7rocprim17ROCPRIM_400000_NS6detail17trampoline_kernelINS0_14default_configENS1_22reduce_config_selectorI18summary_stats_dataIfEEEZNS1_11reduce_implILb1ES3_PS6_S9_S6_23summary_stats_binary_opIfEEE10hipError_tPvRmT1_T2_T3_mT4_P12ihipStream_tbEUlT_E0_NS1_11comp_targetILNS1_3genE8ELNS1_11target_archE1030ELNS1_3gpuE2ELNS1_3repE0EEENS1_30default_config_static_selectorELNS0_4arch9wavefront6targetE0EEEvSF_,@function
_ZN7rocprim17ROCPRIM_400000_NS6detail17trampoline_kernelINS0_14default_configENS1_22reduce_config_selectorI18summary_stats_dataIfEEEZNS1_11reduce_implILb1ES3_PS6_S9_S6_23summary_stats_binary_opIfEEE10hipError_tPvRmT1_T2_T3_mT4_P12ihipStream_tbEUlT_E0_NS1_11comp_targetILNS1_3genE8ELNS1_11target_archE1030ELNS1_3gpuE2ELNS1_3repE0EEENS1_30default_config_static_selectorELNS0_4arch9wavefront6targetE0EEEvSF_: ; @_ZN7rocprim17ROCPRIM_400000_NS6detail17trampoline_kernelINS0_14default_configENS1_22reduce_config_selectorI18summary_stats_dataIfEEEZNS1_11reduce_implILb1ES3_PS6_S9_S6_23summary_stats_binary_opIfEEE10hipError_tPvRmT1_T2_T3_mT4_P12ihipStream_tbEUlT_E0_NS1_11comp_targetILNS1_3genE8ELNS1_11target_archE1030ELNS1_3gpuE2ELNS1_3repE0EEENS1_30default_config_static_selectorELNS0_4arch9wavefront6targetE0EEEvSF_
; %bb.0:
	s_clause 0x2
	s_load_dwordx8 s[8:15], s[4:5], 0x0
	s_load_dwordx8 s[16:23], s[4:5], 0x20
	s_load_dwordx4 s[24:27], s[4:5], 0x40
	s_mul_i32 s2, s6, 0x3800
	v_mbcnt_lo_u32_b32 v5, -1, 0
	s_mov_b32 s7, 0
	s_waitcnt lgkmcnt(0)
	s_mul_i32 s0, s11, 28
	s_mul_hi_u32 s1, s10, 28
	s_mul_i32 s3, s10, 28
	s_add_i32 s1, s1, s0
	s_add_u32 s3, s8, s3
	s_addc_u32 s4, s9, s1
	s_lshl_b32 s10, s6, 9
	s_lshr_b64 s[0:1], s[12:13], 9
	s_mul_hi_u32 s5, s10, 28
	s_add_u32 s8, s3, s2
	s_addc_u32 s9, s4, s5
	s_cmp_lg_u64 s[0:1], s[6:7]
	s_cbranch_scc0 .LBB8_6
; %bb.1:
	v_mad_u64_u32 v[11:12], null, v0, 28, s[8:9]
	v_add_co_u32 v6, vcc_lo, 0x1800, v11
	v_add_co_ci_u32_e64 v7, null, 0, v12, vcc_lo
	v_add_co_u32 v15, vcc_lo, 0x1c00, v11
	s_clause 0x1
	global_load_dwordx4 v[1:4], v[11:12], off
	global_load_dwordx4 v[7:10], v[6:7], off offset:1024
	v_add_co_ci_u32_e64 v16, null, 0, v12, vcc_lo
	s_clause 0x1
	global_load_dwordx3 v[12:14], v[11:12], off offset:16
	global_load_dwordx3 v[15:17], v[15:16], off offset:16
	s_waitcnt vmcnt(3)
	v_mul_f32_e32 v18, v1, v1
	s_waitcnt vmcnt(2)
	v_cmp_lt_f32_e32 vcc_lo, v8, v2
	v_sub_f32_e32 v21, v10, v4
	v_mul_f32_e32 v19, v7, v7
	v_add_f32_e32 v6, v1, v7
	v_fma_f32 v24, -v1, v7, v18
	v_cndmask_b32_e32 v2, v2, v8, vcc_lo
	v_cmp_lt_f32_e32 vcc_lo, v3, v9
	s_waitcnt vmcnt(0)
	v_add_f32_e32 v10, v13, v16
	v_mul_f32_e32 v13, v13, v7
	v_add_f32_e32 v11, v12, v15
	v_mul_f32_e32 v18, v18, v15
	v_cndmask_b32_e32 v8, v3, v9, vcc_lo
	v_mul_f32_e32 v3, v12, v7
	v_add_f32_e32 v9, v14, v17
	v_mul_f32_e32 v17, v21, v21
	v_mul_f32_e32 v26, v7, v21
	v_mov_b32_dpp v22, v8 quad_perm:[1,0,3,2] row_mask:0xf bank_mask:0xf
	v_fma_f32 v3, v1, v15, -v3
	v_fma_f32 v15, v1, v16, -v13
	v_mov_b32_dpp v16, v2 quad_perm:[1,0,3,2] row_mask:0xf bank_mask:0xf
	v_fmac_f32_e32 v18, v12, v19
	v_mul_f32_e32 v28, 0x40c00000, v17
	v_div_scale_f32 v35, null, v6, v6, v26
	v_cmp_lt_f32_e64 s0, v2, v16
	v_mul_f32_e32 v25, v21, v17
	v_mul_f32_e32 v30, v28, v18
	v_rcp_f32_e32 v37, v35
	v_mul_f32_e32 v12, 4.0, v21
	v_cndmask_b32_e64 v2, v16, v2, s0
	v_cmp_gt_f32_e64 s0, v8, v22
	v_mul_f32_e32 v27, v1, v17
	v_sub_f32_e32 v23, v1, v7
	v_mul_f32_e32 v20, 0x40400000, v21
	v_mov_b32_dpp v28, v2 quad_perm:[2,3,0,1] row_mask:0xf bank_mask:0xf
	v_cndmask_b32_e64 v16, v22, v8, s0
	v_mul_f32_e32 v8, v21, v25
	v_div_scale_f32 v36, vcc_lo, v26, v6, v26
	v_cmp_lt_f32_e64 s4, v2, v28
	v_mov_b32_dpp v31, v16 quad_perm:[2,3,0,1] row_mask:0xf bank_mask:0xf
	v_mul_f32_e32 v17, v12, v15
	v_mul_f32_e32 v12, v7, v27
	;; [unrolled: 1-line block ×3, first 2 shown]
	v_cndmask_b32_e64 v2, v28, v2, s4
	v_cmp_gt_f32_e64 s4, v16, v31
	v_mul_f32_e32 v1, v1, v8
	v_fmac_f32_e32 v24, v7, v7
	v_div_scale_f32 v42, null, v6, v6, v12
	v_cndmask_b32_e64 v16, v31, v16, s4
	v_fma_f32 v31, -v35, v37, 1.0
	v_mul_f32_e32 v1, v7, v1
	v_mov_b32_dpp v33, v2 row_ror:4 row_mask:0xf bank_mask:0xf
	v_mul_f32_e32 v21, v7, v21
	v_rcp_f32_e32 v48, v42
	v_fmac_f32_e32 v37, v31, v37
	v_mov_b32_dpp v51, v16 row_ror:4 row_mask:0xf bank_mask:0xf
	v_mul_f32_e32 v56, v24, v1
	v_cmp_lt_f32_e64 s5, v2, v33
	v_mul_f32_e32 v14, v6, v6
	v_mul_f32_e32 v54, v36, v37
	;; [unrolled: 1-line block ×4, first 2 shown]
	v_cndmask_b32_e64 v2, v33, v2, s5
	v_cmp_gt_f32_e64 s5, v16, v51
	v_fma_f32 v1, -v35, v54, v36
	v_div_scale_f32 v52, null, v14, v14, v49
	v_div_scale_f32 v38, null, v6, v6, v20
	v_fmac_f32_e32 v54, v1, v37
	v_cndmask_b32_e64 v1, v51, v16, s5
	v_fma_f32 v16, -v42, v48, 1.0
	v_div_scale_f32 v40, null, v6, v6, v17
	v_fma_f32 v35, -v35, v54, v36
	v_div_scale_f32 v43, s3, v12, v6, v12
	v_rcp_f32_e32 v36, v52
	v_fmac_f32_e32 v48, v16, v48
	v_div_fmas_f32 v16, v35, v37, v54
	v_rcp_f32_e32 v44, v38
	v_rcp_f32_e32 v47, v40
	v_mul_f32_e32 v19, v6, v14
	v_mul_f32_e32 v54, v43, v48
	v_div_fixup_f32 v16, v16, v6, v26
	v_div_scale_f32 v45, null, v14, v14, v30
	v_div_scale_f32 v53, s4, v49, v14, v49
	v_fma_f32 v57, -v42, v54, v43
	v_add_f32_e32 v58, v4, v16
	v_fma_f32 v4, -v52, v36, 1.0
	v_rcp_f32_e32 v50, v45
	v_fma_f32 v55, -v38, v44, 1.0
	v_fma_f32 v24, -v40, v47, 1.0
	v_div_scale_f32 v35, null, v19, v19, v56
	v_fmac_f32_e32 v54, v57, v48
	v_fmac_f32_e32 v36, v4, v36
	v_div_scale_f32 v39, s1, v20, v6, v20
	v_div_scale_f32 v41, s0, v17, v6, v17
	v_fmac_f32_e32 v44, v55, v44
	v_fmac_f32_e32 v47, v24, v47
	v_mov_b32_dpp v16, v2 row_ror:8 row_mask:0xf bank_mask:0xf
	v_rcp_f32_e32 v60, v35
	v_fma_f32 v4, -v42, v54, v43
	v_mul_f32_e32 v42, v53, v36
	s_mov_b32 vcc_lo, s3
	v_fma_f32 v55, -v45, v50, 1.0
	v_mul_f32_e32 v57, v39, v44
	v_mul_f32_e32 v43, v41, v47
	v_div_fmas_f32 v48, v4, v48, v54
	v_fma_f32 v54, -v52, v42, v53
	v_cmp_lt_f32_e32 vcc_lo, v2, v16
	v_div_scale_f32 v46, s2, v30, v14, v30
	v_fmac_f32_e32 v50, v55, v50
	v_fma_f32 v55, -v38, v57, v39
	v_cndmask_b32_e32 v4, v16, v2, vcc_lo
	v_fma_f32 v2, -v40, v43, v41
	v_fmac_f32_e32 v42, v54, v36
	v_fma_f32 v54, -v35, v60, 1.0
	v_div_scale_f32 v37, s5, v56, v19, v56
	v_fmac_f32_e32 v57, v55, v44
	v_fmac_f32_e32 v43, v2, v47
	v_mul_f32_e32 v55, v46, v50
	v_fma_f32 v2, -v52, v42, v53
	v_fmac_f32_e32 v60, v54, v60
	s_mov_b32 vcc_lo, s4
	v_fma_f32 v38, -v38, v57, v39
	v_fma_f32 v53, -v45, v55, v46
	v_div_fmas_f32 v36, v2, v36, v42
	v_mul_f32_e32 v42, v37, v60
	v_mov_b32_dpp v13, v6 quad_perm:[1,0,3,2] row_mask:0xf bank_mask:0xf
	v_div_fixup_f32 v48, v48, v6, v12
	v_fmac_f32_e32 v55, v53, v50
	s_mov_b32 vcc_lo, s1
	v_fma_f32 v53, -v35, v42, v37
	v_div_fmas_f32 v38, v38, v44, v57
	s_mov_b32 vcc_lo, s5
	v_fma_f32 v45, -v45, v55, v46
	v_add_f32_e32 v3, v6, v13
	v_fmac_f32_e32 v42, v53, v60
	v_mov_b32_dpp v53, v58 quad_perm:[1,0,3,2] row_mask:0xf bank_mask:0xf
	v_fma_f32 v40, -v40, v43, v41
	v_add_f32_e32 v11, v11, v48
	v_div_fixup_f32 v36, v36, v14, v49
	v_fma_f32 v35, -v35, v42, v37
	v_sub_f32_e32 v37, v58, v53
	v_div_fixup_f32 v20, v38, v6, v20
	v_mul_f32_e32 v29, v13, v13
	v_add_f32_e32 v10, v10, v36
	v_div_fmas_f32 v35, v35, v60, v42
	v_mul_f32_e32 v44, v37, v37
	v_mul_f32_e32 v48, v6, v37
	s_mov_b32 vcc_lo, s2
	v_mov_b32_dpp v42, v11 quad_perm:[1,0,3,2] row_mask:0xf bank_mask:0xf
	v_div_fmas_f32 v38, v45, v50, v55
	s_mov_b32 vcc_lo, s0
	v_div_fixup_f32 v19, v35, v19, v56
	v_div_fmas_f32 v40, v40, v47, v43
	v_div_scale_f32 v36, null, v3, v3, v48
	v_mul_f32_e32 v47, v44, v13
	v_mul_f32_e32 v35, v37, v44
	v_add_f32_e32 v45, v11, v42
	v_mul_f32_e32 v50, v6, v42
	v_mul_f32_e32 v42, v14, v42
	v_div_fixup_f32 v14, v38, v14, v30
	v_add_f32_e32 v10, v20, v10
	v_add_f32_e32 v9, v9, v19
	v_rcp_f32_e32 v20, v36
	v_mul_f32_e32 v30, v6, v47
	v_mul_f32_e32 v44, 0x40c00000, v44
	v_div_fixup_f32 v17, v40, v6, v17
	v_mul_f32_e32 v19, v37, v35
	v_fmac_f32_e32 v42, v11, v29
	v_add_f32_e32 v9, v14, v9
	v_div_scale_f32 v14, null, v3, v3, v30
	v_mul_f32_e32 v15, v3, v3
	v_fma_f32 v27, -v6, v13, v29
	v_mul_f32_e32 v49, 0x40400000, v37
	v_mul_f32_e32 v54, 4.0, v37
	v_mul_f32_e32 v35, v35, v13
	v_fma_f32 v37, v11, v13, -v50
	v_mov_b32_dpp v11, v10 quad_perm:[1,0,3,2] row_mask:0xf bank_mask:0xf
	v_mul_f32_e32 v19, v19, v13
	v_mul_f32_e32 v38, v44, v42
	v_add_f32_e32 v9, v17, v9
	v_fma_f32 v17, -v36, v20, 1.0
	v_rcp_f32_e32 v40, v14
	v_sub_f32_e32 v22, v13, v6
	v_fmac_f32_e32 v27, v6, v6
	v_div_scale_f32 v43, vcc_lo, v48, v3, v48
	v_mul_f32_e32 v35, v6, v35
	v_mul_f32_e32 v37, v49, v37
	v_mul_f32_e32 v19, v6, v19
	v_div_scale_f32 v47, null, v15, v15, v38
	v_mul_f32_e32 v6, v6, v11
	v_fmac_f32_e32 v20, v17, v20
	v_add_f32_e32 v42, v10, v11
	v_mul_f32_e32 v22, v22, v35
	v_div_scale_f32 v35, null, v3, v3, v37
	v_mul_f32_e32 v19, v27, v19
	v_rcp_f32_e32 v27, v47
	v_fma_f32 v6, v10, v13, -v6
	v_mul_f32_e32 v10, v43, v20
	v_fma_f32 v13, -v14, v40, 1.0
	v_mul_f32_e32 v25, v3, v15
	v_div_scale_f32 v29, s0, v30, v3, v30
	v_mov_b32_dpp v11, v9 quad_perm:[1,0,3,2] row_mask:0xf bank_mask:0xf
	v_div_scale_f32 v17, null, v15, v15, v22
	v_rcp_f32_e32 v55, v35
	v_mul_f32_e32 v6, v54, v6
	v_fma_f32 v54, -v36, v10, v43
	v_fmac_f32_e32 v40, v13, v40
	v_rcp_f32_e32 v56, v17
	v_add_f32_e32 v9, v9, v11
	v_div_scale_f32 v11, null, v25, v25, v19
	v_fma_f32 v58, -v47, v27, 1.0
	v_fmac_f32_e32 v10, v54, v20
	v_mul_f32_e32 v54, v29, v40
	v_fma_f32 v13, -v35, v55, 1.0
	v_rcp_f32_e32 v57, v11
	v_fmac_f32_e32 v27, v58, v27
	v_fma_f32 v36, -v36, v10, v43
	v_fma_f32 v43, -v14, v54, v29
	v_div_scale_f32 v58, null, v3, v3, v6
	v_div_scale_f32 v44, s1, v37, v3, v37
	v_div_scale_f32 v49, s2, v38, v15, v38
	v_fmac_f32_e32 v55, v13, v55
	v_fma_f32 v13, -v17, v56, 1.0
	v_fmac_f32_e32 v54, v43, v40
	v_rcp_f32_e32 v43, v58
	v_div_scale_f32 v50, s3, v22, v15, v22
	v_fmac_f32_e32 v56, v13, v56
	v_div_fmas_f32 v10, v36, v20, v10
	v_mul_f32_e32 v20, v44, v55
	v_fma_f32 v14, -v14, v54, v29
	v_fma_f32 v29, -v11, v57, 1.0
	v_mul_f32_e32 v36, v49, v27
	s_mov_b32 vcc_lo, s0
	v_div_scale_f32 v13, s4, v19, v25, v19
	v_div_fmas_f32 v14, v14, v40, v54
	v_mul_f32_e32 v40, v50, v56
	v_fma_f32 v54, -v35, v20, v44
	v_fmac_f32_e32 v57, v29, v57
	v_fma_f32 v29, -v47, v36, v49
	v_div_fixup_f32 v10, v10, v3, v48
	v_fma_f32 v48, -v58, v43, 1.0
	v_fmac_f32_e32 v20, v54, v55
	v_div_fixup_f32 v14, v14, v3, v30
	v_fmac_f32_e32 v36, v29, v27
	v_fma_f32 v29, -v17, v40, v50
	v_fmac_f32_e32 v43, v48, v43
	v_mul_f32_e32 v48, v13, v57
	v_add_f32_e32 v10, v10, v53
	v_div_scale_f32 v53, s0, v6, v3, v6
	v_fmac_f32_e32 v40, v29, v56
	v_fma_f32 v29, -v35, v20, v44
	v_fma_f32 v35, -v11, v48, v13
	v_mul_f32_e32 v44, v53, v43
	s_mov_b32 vcc_lo, s3
	v_fma_f32 v17, -v17, v40, v50
	v_mov_b32_dpp v18, v3 quad_perm:[2,3,0,1] row_mask:0xf bank_mask:0xf
	v_fmac_f32_e32 v48, v35, v57
	v_fma_f32 v30, -v58, v44, v53
	v_mov_b32_dpp v35, v10 quad_perm:[2,3,0,1] row_mask:0xf bank_mask:0xf
	v_add_f32_e32 v14, v45, v14
	v_div_fmas_f32 v17, v17, v56, v40
	v_fma_f32 v11, -v11, v48, v13
	v_fmac_f32_e32 v44, v30, v43
	v_sub_f32_e32 v10, v10, v35
	s_mov_b32 vcc_lo, s1
	v_fma_f32 v47, -v47, v36, v49
	v_div_fmas_f32 v13, v29, v55, v20
	s_mov_b32 vcc_lo, s4
	v_add_f32_e32 v8, v3, v18
	v_div_fixup_f32 v17, v17, v15, v22
	v_div_fmas_f32 v11, v11, v57, v48
	v_fma_f32 v20, -v58, v44, v53
	v_mov_b32_dpp v22, v14 quad_perm:[2,3,0,1] row_mask:0xf bank_mask:0xf
	v_mul_f32_e32 v29, v10, v10
	v_mul_f32_e32 v30, v3, v10
	s_mov_b32 vcc_lo, s2
	v_div_fixup_f32 v13, v13, v3, v37
	v_div_fmas_f32 v27, v47, v27, v36
	s_mov_b32 vcc_lo, s0
	v_add_f32_e32 v17, v42, v17
	v_div_fixup_f32 v11, v11, v25, v19
	v_div_fmas_f32 v19, v20, v43, v44
	v_mul_f32_e32 v20, v10, v29
	v_div_scale_f32 v25, null, v8, v8, v30
	v_mul_f32_e32 v42, v29, v18
	v_mul_f32_e32 v43, v3, v22
	;; [unrolled: 1-line block ×4, first 2 shown]
	v_mul_f32_e32 v45, 4.0, v10
	v_add_f32_e32 v37, v14, v22
	v_mul_f32_e32 v22, v15, v22
	v_div_fixup_f32 v15, v27, v15, v38
	v_add_f32_e32 v13, v13, v17
	v_add_f32_e32 v9, v9, v11
	v_div_fixup_f32 v6, v19, v3, v6
	v_mul_f32_e32 v10, v10, v20
	v_rcp_f32_e32 v11, v25
	v_mul_f32_e32 v17, v3, v42
	v_mul_f32_e32 v19, v20, v18
	v_fma_f32 v20, v14, v18, -v43
	v_sub_f32_e32 v28, v18, v3
	v_fma_f32 v32, -v3, v18, v34
	v_mul_f32_e32 v29, 0x40c00000, v29
	v_fmac_f32_e32 v22, v34, v14
	v_add_f32_e32 v9, v15, v9
	v_mov_b32_dpp v14, v13 quad_perm:[2,3,0,1] row_mask:0xf bank_mask:0xf
	v_div_scale_f32 v15, null, v8, v8, v17
	v_mul_f32_e32 v19, v3, v19
	v_mul_f32_e32 v20, v40, v20
	;; [unrolled: 1-line block ×4, first 2 shown]
	v_fmac_f32_e32 v32, v3, v3
	v_mul_f32_e32 v22, v29, v22
	v_add_f32_e32 v6, v6, v9
	v_fma_f32 v9, -v25, v11, 1.0
	v_rcp_f32_e32 v29, v15
	v_mul_f32_e32 v19, v28, v19
	v_div_scale_f32 v28, null, v8, v8, v20
	v_mul_f32_e32 v10, v3, v10
	v_mul_f32_e32 v3, v3, v14
	;; [unrolled: 1-line block ×3, first 2 shown]
	v_div_scale_f32 v36, vcc_lo, v30, v8, v30
	v_add_f32_e32 v34, v13, v14
	v_div_scale_f32 v40, null, v21, v21, v22
	v_mov_b32_dpp v14, v6 quad_perm:[2,3,0,1] row_mask:0xf bank_mask:0xf
	v_fmac_f32_e32 v11, v9, v11
	v_div_scale_f32 v9, null, v21, v21, v19
	v_rcp_f32_e32 v44, v28
	v_mul_f32_e32 v10, v32, v10
	v_fma_f32 v3, v13, v18, -v3
	v_rcp_f32_e32 v32, v40
	v_mul_f32_e32 v13, v36, v11
	v_fma_f32 v18, -v15, v29, 1.0
	v_rcp_f32_e32 v47, v9
	v_add_f32_e32 v6, v6, v14
	v_div_scale_f32 v14, null, v31, v31, v10
	v_mul_f32_e32 v3, v45, v3
	v_div_scale_f32 v27, s0, v17, v8, v17
	v_fma_f32 v45, -v25, v13, v36
	v_fmac_f32_e32 v29, v18, v29
	v_fma_f32 v18, -v28, v44, 1.0
	v_rcp_f32_e32 v49, v14
	v_div_scale_f32 v53, null, v8, v8, v3
	v_div_scale_f32 v38, s1, v20, v8, v20
	v_fma_f32 v50, -v40, v32, 1.0
	v_fmac_f32_e32 v13, v45, v11
	v_mul_f32_e32 v45, v27, v29
	v_fma_f32 v56, -v9, v47, 1.0
	v_fmac_f32_e32 v44, v18, v44
	v_rcp_f32_e32 v18, v53
	v_div_scale_f32 v43, s3, v19, v21, v19
	v_fmac_f32_e32 v32, v50, v32
	v_fma_f32 v25, -v25, v13, v36
	v_fma_f32 v36, -v15, v45, v27
	v_fmac_f32_e32 v47, v56, v47
	v_mul_f32_e32 v50, v38, v44
	v_fma_f32 v56, -v14, v49, 1.0
	v_div_scale_f32 v48, s4, v10, v31, v10
	v_div_fmas_f32 v11, v25, v11, v13
	v_fmac_f32_e32 v45, v36, v29
	v_mul_f32_e32 v13, v43, v47
	v_fma_f32 v25, -v28, v50, v38
	v_fmac_f32_e32 v49, v56, v49
	v_fma_f32 v56, -v53, v18, 1.0
	v_div_scale_f32 v42, s2, v22, v21, v22
	v_div_scale_f32 v55, s5, v3, v8, v3
	v_div_fixup_f32 v11, v11, v8, v30
	v_fma_f32 v15, -v15, v45, v27
	v_fma_f32 v27, -v9, v13, v43
	v_fmac_f32_e32 v50, v25, v44
	v_mul_f32_e32 v25, v48, v49
	v_fmac_f32_e32 v18, v56, v18
	v_mul_f32_e32 v57, v42, v32
	s_mov_b32 vcc_lo, s0
	v_add_f32_e32 v11, v11, v35
	v_div_fmas_f32 v15, v15, v29, v45
	v_fmac_f32_e32 v13, v27, v47
	v_fma_f32 v27, -v28, v50, v38
	v_fma_f32 v28, -v14, v25, v48
	v_mul_f32_e32 v29, v55, v18
	v_fma_f32 v36, -v40, v57, v42
	v_div_fixup_f32 v15, v15, v8, v17
	v_fma_f32 v9, -v9, v13, v43
	v_fmac_f32_e32 v25, v28, v49
	v_fma_f32 v17, -v53, v29, v55
	v_mov_b32_dpp v28, v11 row_ror:4 row_mask:0xf bank_mask:0xf
	v_fmac_f32_e32 v57, v36, v32
	s_mov_b32 vcc_lo, s3
	v_mov_b32_dpp v23, v8 row_ror:4 row_mask:0xf bank_mask:0xf
	v_add_f32_e32 v15, v37, v15
	v_div_fmas_f32 v9, v9, v47, v13
	v_fma_f32 v13, -v14, v25, v48
	v_fmac_f32_e32 v29, v17, v18
	v_sub_f32_e32 v11, v11, v28
	s_mov_b32 vcc_lo, s1
	v_fma_f32 v30, -v40, v57, v42
	v_div_fmas_f32 v14, v27, v44, v50
	s_mov_b32 vcc_lo, s4
	v_add_f32_e32 v7, v8, v23
	v_div_fixup_f32 v9, v9, v21, v19
	v_div_fmas_f32 v13, v13, v49, v25
	v_fma_f32 v17, -v53, v29, v55
	v_mov_b32_dpp v19, v15 row_ror:4 row_mask:0xf bank_mask:0xf
	v_mul_f32_e32 v25, v11, v11
	v_mul_f32_e32 v27, v8, v11
	s_mov_b32 vcc_lo, s2
	v_div_fixup_f32 v14, v14, v8, v20
	v_div_fmas_f32 v20, v30, v32, v57
	s_mov_b32 vcc_lo, s5
	v_add_f32_e32 v9, v34, v9
	v_div_fixup_f32 v10, v13, v31, v10
	v_div_fmas_f32 v13, v17, v18, v29
	v_mul_f32_e32 v17, v11, v25
	v_div_scale_f32 v18, null, v7, v7, v27
	v_mul_f32_e32 v31, v25, v23
	v_mul_f32_e32 v32, v8, v19
	;; [unrolled: 1-line block ×4, first 2 shown]
	v_mul_f32_e32 v36, 4.0, v11
	v_add_f32_e32 v30, v15, v19
	v_mul_f32_e32 v19, v21, v19
	v_div_fixup_f32 v20, v20, v21, v22
	v_add_f32_e32 v9, v14, v9
	v_add_f32_e32 v6, v6, v10
	v_div_fixup_f32 v3, v13, v8, v3
	v_mul_f32_e32 v10, v11, v17
	v_rcp_f32_e32 v11, v18
	v_mul_f32_e32 v13, v8, v31
	v_mul_f32_e32 v14, v17, v23
	v_fma_f32 v17, v15, v23, -v32
	v_sub_f32_e32 v33, v23, v8
	v_fma_f32 v59, -v8, v23, v51
	v_mul_f32_e32 v25, 0x40c00000, v25
	v_fmac_f32_e32 v19, v51, v15
	v_add_f32_e32 v6, v20, v6
	v_mov_b32_dpp v15, v9 row_ror:4 row_mask:0xf bank_mask:0xf
	v_div_scale_f32 v20, null, v7, v7, v13
	v_mul_f32_e32 v14, v8, v14
	v_mul_f32_e32 v17, v35, v17
	;; [unrolled: 1-line block ×4, first 2 shown]
	v_fmac_f32_e32 v59, v8, v8
	v_mul_f32_e32 v19, v25, v19
	v_add_f32_e32 v3, v3, v6
	v_fma_f32 v6, -v18, v11, 1.0
	v_rcp_f32_e32 v22, v20
	v_mul_f32_e32 v14, v33, v14
	v_div_scale_f32 v31, null, v7, v7, v17
	v_mul_f32_e32 v10, v8, v10
	v_mul_f32_e32 v8, v8, v15
	;; [unrolled: 1-line block ×3, first 2 shown]
	v_div_scale_f32 v29, vcc_lo, v27, v7, v27
	v_add_f32_e32 v25, v9, v15
	v_div_scale_f32 v33, null, v26, v26, v19
	v_mov_b32_dpp v15, v3 row_ror:4 row_mask:0xf bank_mask:0xf
	v_fmac_f32_e32 v11, v6, v11
	v_div_scale_f32 v6, null, v26, v26, v14
	v_rcp_f32_e32 v37, v31
	v_mul_f32_e32 v10, v59, v10
	v_fma_f32 v8, v9, v23, -v8
	v_rcp_f32_e32 v38, v33
	v_mul_f32_e32 v9, v29, v11
	v_fma_f32 v23, -v20, v22, 1.0
	v_rcp_f32_e32 v40, v6
	v_add_f32_e32 v3, v3, v15
	v_div_scale_f32 v15, null, v52, v52, v10
	v_mul_f32_e32 v8, v36, v8
	v_div_scale_f32 v21, s0, v13, v7, v13
	v_fma_f32 v36, -v18, v9, v29
	v_fmac_f32_e32 v22, v23, v22
	v_fma_f32 v23, -v31, v37, 1.0
	v_rcp_f32_e32 v43, v15
	v_div_scale_f32 v45, null, v7, v7, v8
	v_div_scale_f32 v32, s1, v17, v7, v17
	v_fma_f32 v44, -v33, v38, 1.0
	v_fmac_f32_e32 v9, v36, v11
	v_mul_f32_e32 v36, v21, v22
	v_fma_f32 v48, -v6, v40, 1.0
	v_fmac_f32_e32 v37, v23, v37
	v_rcp_f32_e32 v23, v45
	v_div_scale_f32 v35, s3, v14, v26, v14
	v_fmac_f32_e32 v38, v44, v38
	v_fma_f32 v18, -v18, v9, v29
	v_fma_f32 v29, -v20, v36, v21
	v_fmac_f32_e32 v40, v48, v40
	v_mul_f32_e32 v44, v32, v37
	v_fma_f32 v48, -v15, v43, 1.0
	v_div_scale_f32 v42, s4, v10, v52, v10
	v_div_fmas_f32 v9, v18, v11, v9
	v_fmac_f32_e32 v36, v29, v22
	v_mul_f32_e32 v11, v35, v40
	v_fma_f32 v18, -v31, v44, v32
	v_fmac_f32_e32 v43, v48, v43
	v_fma_f32 v48, -v45, v23, 1.0
	v_div_scale_f32 v34, s2, v19, v26, v19
	v_div_scale_f32 v47, s5, v8, v7, v8
	v_div_fixup_f32 v9, v9, v7, v27
	v_fma_f32 v20, -v20, v36, v21
	v_fma_f32 v21, -v6, v11, v35
	v_fmac_f32_e32 v44, v18, v37
	v_mul_f32_e32 v18, v42, v43
	v_fmac_f32_e32 v23, v48, v23
	v_mul_f32_e32 v49, v34, v38
	s_mov_b32 vcc_lo, s0
	v_add_f32_e32 v9, v9, v28
	v_div_fmas_f32 v20, v20, v22, v36
	v_fmac_f32_e32 v11, v21, v40
	v_fma_f32 v22, -v15, v18, v42
	v_mul_f32_e32 v27, v47, v23
	v_fma_f32 v29, -v33, v49, v34
	v_div_fixup_f32 v13, v20, v7, v13
	v_fma_f32 v6, -v6, v11, v35
	v_fmac_f32_e32 v18, v22, v43
	v_fma_f32 v20, -v45, v27, v47
	v_mov_b32_dpp v22, v9 row_ror:8 row_mask:0xf bank_mask:0xf
	v_fmac_f32_e32 v49, v29, v38
	v_fma_f32 v21, -v31, v44, v32
	s_mov_b32 vcc_lo, s3
	v_mov_b32_dpp v24, v7 row_ror:8 row_mask:0xf bank_mask:0xf
	v_div_fmas_f32 v6, v6, v40, v11
	v_fma_f32 v11, -v15, v18, v42
	v_fmac_f32_e32 v27, v20, v23
	v_sub_f32_e32 v9, v9, v22
	s_mov_b32 vcc_lo, s1
	v_fma_f32 v28, -v33, v49, v34
	v_div_fmas_f32 v15, v21, v37, v44
	s_mov_b32 vcc_lo, s4
	v_add_f32_e32 v2, v7, v24
	v_div_fixup_f32 v6, v6, v26, v14
	v_div_fmas_f32 v11, v11, v43, v18
	v_fma_f32 v14, -v45, v27, v47
	v_mul_f32_e32 v21, v7, v9
	s_mov_b32 vcc_lo, s2
	v_div_fixup_f32 v15, v15, v7, v17
	v_div_fmas_f32 v17, v28, v38, v49
	s_mov_b32 vcc_lo, s5
	v_add_f32_e32 v13, v30, v13
	v_mul_f32_e32 v20, v9, v9
	v_div_fixup_f32 v10, v11, v52, v10
	v_div_fmas_f32 v11, v14, v23, v27
	v_div_scale_f32 v23, null, v2, v2, v21
	v_mov_b32_dpp v18, v13 row_ror:8 row_mask:0xf bank_mask:0xf
	v_add_f32_e32 v6, v25, v6
	v_mul_f32_e32 v28, v20, v24
	v_div_fixup_f32 v17, v17, v26, v19
	v_add_f32_e32 v3, v3, v10
	v_div_fixup_f32 v8, v11, v7, v8
	v_rcp_f32_e32 v11, v23
	v_mul_f32_e32 v41, v24, v24
	v_mul_f32_e32 v14, v9, v20
	v_add_f32_e32 v27, v13, v18
	v_mul_f32_e32 v30, v7, v18
	v_mul_f32_e32 v18, v26, v18
	v_add_f32_e32 v6, v15, v6
	v_mul_f32_e32 v15, v7, v28
	v_add_f32_e32 v3, v17, v3
	v_mul_f32_e32 v20, 0x40c00000, v20
	v_mul_f32_e32 v10, v9, v14
	;; [unrolled: 1-line block ×3, first 2 shown]
	v_fmac_f32_e32 v18, v41, v13
	v_div_scale_f32 v17, null, v2, v2, v15
	v_add_f32_e32 v3, v8, v3
	v_fma_f32 v8, -v23, v11, 1.0
	v_sub_f32_e32 v39, v24, v7
	v_fma_f32 v46, -v7, v24, v41
	v_div_scale_f32 v25, vcc_lo, v21, v2, v21
	v_mul_f32_e32 v14, v7, v14
	v_mul_f32_e32 v10, v10, v24
	;; [unrolled: 1-line block ×3, first 2 shown]
	v_rcp_f32_e32 v20, v17
	v_fmac_f32_e32 v11, v8, v11
	v_mul_f32_e32 v12, v2, v2
	v_fmac_f32_e32 v46, v7, v7
	v_fma_f32 v19, v13, v24, -v30
	v_mul_f32_e32 v14, v39, v14
	v_mul_f32_e32 v10, v7, v10
	;; [unrolled: 1-line block ×5, first 2 shown]
	v_div_scale_f32 v31, null, v12, v12, v14
	v_fma_f32 v32, -v17, v20, 1.0
	v_mul_f32_e32 v10, v46, v10
	v_fma_f32 v34, -v23, v30, v25
	v_div_scale_f32 v26, s0, v15, v2, v15
	v_mul_f32_e32 v19, v29, v19
	v_rcp_f32_e32 v35, v31
	v_fmac_f32_e32 v20, v32, v20
	v_div_scale_f32 v32, null, v54, v54, v10
	v_fmac_f32_e32 v30, v34, v11
	v_div_scale_f32 v28, null, v2, v2, v19
	v_mul_f32_e32 v36, v26, v20
	v_rcp_f32_e32 v38, v32
	v_fma_f32 v23, -v23, v30, v25
	v_mov_b32_dpp v13, v6 row_ror:8 row_mask:0xf bank_mask:0xf
	v_rcp_f32_e32 v33, v28
	v_fma_f32 v25, -v31, v35, 1.0
	v_fma_f32 v39, -v17, v36, v26
	v_div_fmas_f32 v11, v23, v11, v30
	v_div_scale_f32 v29, null, v12, v12, v18
	v_div_scale_f32 v23, s2, v14, v12, v14
	v_fmac_f32_e32 v36, v39, v20
	v_fmac_f32_e32 v35, v25, v35
	v_div_fixup_f32 v11, v11, v2, v21
	v_fma_f32 v21, -v32, v38, 1.0
	v_mul_f32_e32 v7, v7, v13
	v_fma_f32 v37, -v28, v33, 1.0
	v_fma_f32 v17, -v17, v36, v26
	v_mul_f32_e32 v25, v23, v35
	v_fmac_f32_e32 v38, v21, v38
	v_rcp_f32_e32 v21, v29
	v_mul_f32_e32 v9, 4.0, v9
	v_fma_f32 v7, v6, v24, -v7
	s_mov_b32 vcc_lo, s0
	v_div_scale_f32 v8, s1, v19, v2, v19
	v_fmac_f32_e32 v33, v37, v33
	v_div_fmas_f32 v17, v17, v20, v36
	v_fma_f32 v20, -v31, v25, v23
	v_mul_f32_e32 v7, v9, v7
	v_add_f32_e32 v11, v11, v22
	v_mul_f32_e32 v22, v8, v33
	v_div_scale_f32 v24, s0, v10, v54, v10
	v_fmac_f32_e32 v25, v20, v35
	v_fma_f32 v20, -v29, v21, 1.0
	v_div_scale_f32 v26, null, v2, v2, v7
	v_add_f32_e32 v6, v6, v13
	v_fma_f32 v9, -v28, v22, v8
	v_mul_f32_e32 v13, v24, v38
	v_fmac_f32_e32 v21, v20, v21
	v_rcp_f32_e32 v20, v26
	v_fma_f32 v23, -v31, v25, v23
	v_fmac_f32_e32 v22, v9, v33
	v_fma_f32 v9, -v32, v13, v24
	s_mov_b32 vcc_lo, s2
	v_div_scale_f32 v30, s3, v18, v12, v18
	v_div_fmas_f32 v23, v23, v35, v25
	ds_swizzle_b32 v25, v11 offset:swizzle(BROADCAST,32,15)
	v_fma_f32 v8, -v28, v22, v8
	v_fmac_f32_e32 v13, v9, v38
	v_fma_f32 v31, -v26, v20, 1.0
	s_mov_b32 vcc_lo, s1
	v_mul_f32_e32 v9, v30, v21
	ds_swizzle_b32 v28, v2 offset:swizzle(BROADCAST,32,15)
	v_div_fmas_f32 v8, v8, v33, v22
	v_fma_f32 v22, -v32, v13, v24
	v_fmac_f32_e32 v20, v31, v20
	v_div_scale_f32 v31, s1, v7, v2, v7
	s_mov_b32 vcc_lo, s0
	v_fma_f32 v24, -v29, v9, v30
	v_div_fmas_f32 v13, v22, v38, v13
	v_mul_f32_e32 v22, v31, v20
	v_mov_b32_dpp v34, v3 row_ror:8 row_mask:0xf bank_mask:0xf
	s_mov_b32 vcc_lo, s3
	v_fmac_f32_e32 v9, v24, v21
	v_div_fixup_f32 v10, v13, v54, v10
	v_fma_f32 v24, -v26, v22, v31
	v_add_f32_e32 v3, v3, v34
	s_waitcnt lgkmcnt(1)
	v_sub_f32_e32 v11, v11, v25
	v_fma_f32 v13, -v29, v9, v30
	v_mov_b32_dpp v16, v1 row_ror:8 row_mask:0xf bank_mask:0xf
	v_fmac_f32_e32 v22, v24, v20
	s_waitcnt lgkmcnt(0)
	v_add_f32_e32 v29, v2, v28
	v_mul_f32_e32 v30, v2, v11
	v_div_fmas_f32 v9, v13, v21, v9
	v_add_f32_e32 v3, v3, v10
	v_fma_f32 v10, -v26, v22, v31
	s_mov_b32 vcc_lo, s1
	v_div_scale_f32 v13, null, v29, v29, v30
	v_div_fixup_f32 v9, v9, v12, v18
	v_div_fmas_f32 v10, v10, v20, v22
	v_div_fixup_f32 v14, v23, v12, v14
	v_rcp_f32_e32 v18, v13
	v_cmp_gt_f32_e32 vcc_lo, v1, v16
	v_add_f32_e32 v3, v9, v3
	v_div_fixup_f32 v7, v10, v2, v7
	v_add_f32_e32 v6, v6, v14
	v_div_fixup_f32 v8, v8, v2, v19
	v_cndmask_b32_e32 v1, v16, v1, vcc_lo
	v_div_fixup_f32 v15, v17, v2, v15
	v_add_f32_e32 v3, v7, v3
	ds_swizzle_b32 v7, v4 offset:swizzle(BROADCAST,32,15)
	v_fma_f32 v10, -v13, v18, 1.0
	v_add_f32_e32 v6, v8, v6
	v_mul_f32_e32 v8, v11, v11
	ds_swizzle_b32 v14, v1 offset:swizzle(BROADCAST,32,15)
	v_add_f32_e32 v9, v27, v15
	v_fmac_f32_e32 v18, v10, v18
	v_div_scale_f32 v10, vcc_lo, v30, v29, v30
	v_mul_f32_e32 v15, v8, v28
	ds_swizzle_b32 v16, v9 offset:swizzle(BROADCAST,32,15)
	v_mul_f32_e32 v21, v11, v8
	v_mul_f32_e32 v19, v10, v18
	v_sub_f32_e32 v31, v28, v2
	v_mul_f32_e32 v15, v2, v15
	v_mul_f32_e32 v22, v29, v29
	;; [unrolled: 1-line block ×3, first 2 shown]
	v_fma_f32 v23, -v13, v19, v10
	v_mul_f32_e32 v21, v11, v21
	v_div_scale_f32 v24, null, v29, v29, v15
	s_waitcnt lgkmcnt(2)
	v_cmp_lt_f32_e64 s0, v4, v7
	v_fmac_f32_e32 v19, v23, v18
	v_mul_f32_e32 v26, v2, v26
	v_rcp_f32_e32 v23, v24
	ds_swizzle_b32 v17, v6 offset:swizzle(BROADCAST,32,15)
	v_cndmask_b32_e64 v4, v7, v4, s0
	s_waitcnt lgkmcnt(2)
	v_cmp_gt_f32_e64 s0, v1, v14
	v_fma_f32 v10, -v13, v19, v10
	v_mul_f32_e32 v27, v29, v22
	s_waitcnt lgkmcnt(1)
	v_mul_f32_e32 v13, v2, v16
	v_mul_f32_e32 v12, v12, v16
	v_cndmask_b32_e64 v7, v14, v1, s0
	v_mul_f32_e32 v1, v31, v26
	v_fma_f32 v14, -v24, v23, 1.0
	v_div_fmas_f32 v10, v10, v18, v19
	v_mul_f32_e32 v18, v28, v28
	v_mul_f32_e32 v31, 0x40400000, v11
	v_div_scale_f32 v26, null, v22, v22, v1
	v_fma_f32 v13, v9, v28, -v13
	v_fmac_f32_e32 v23, v14, v23
	v_mul_f32_e32 v19, v21, v28
	v_rcp_f32_e32 v14, v26
	v_fma_f32 v21, -v2, v28, v18
	v_mul_f32_e32 v13, v31, v13
	v_div_scale_f32 v31, vcc_lo, v15, v29, v15
	v_mul_f32_e32 v19, v2, v19
	v_fmac_f32_e32 v21, v2, v2
	v_div_fixup_f32 v10, v10, v29, v30
	v_mul_f32_e32 v33, v31, v23
	v_mul_f32_e32 v8, 0x40c00000, v8
	v_fma_f32 v30, -v26, v14, 1.0
	v_mul_f32_e32 v19, v21, v19
	v_fmac_f32_e32 v12, v18, v9
	v_div_scale_f32 v32, null, v29, v29, v13
	v_fma_f32 v21, -v24, v33, v31
	v_fmac_f32_e32 v14, v30, v14
	v_div_scale_f32 v30, null, v27, v27, v19
	v_mul_f32_e32 v8, v8, v12
	v_rcp_f32_e32 v34, v32
	v_fmac_f32_e32 v33, v21, v23
	v_rcp_f32_e32 v36, v30
	s_waitcnt lgkmcnt(0)
	v_mul_f32_e32 v2, v2, v17
	v_div_scale_f32 v21, null, v22, v22, v8
	v_mul_f32_e32 v11, 4.0, v11
	v_div_scale_f32 v18, s0, v1, v22, v1
	v_rcp_f32_e32 v38, v21
	v_fma_f32 v2, v6, v28, -v2
	v_fma_f32 v35, -v32, v34, 1.0
	v_fma_f32 v37, -v30, v36, 1.0
	v_mul_f32_e32 v12, v18, v14
	v_fma_f32 v24, -v24, v33, v31
	v_mul_f32_e32 v2, v11, v2
	v_fmac_f32_e32 v34, v35, v34
	v_div_scale_f32 v35, s1, v13, v29, v13
	v_fmac_f32_e32 v36, v37, v36
	v_fma_f32 v37, -v21, v38, 1.0
	v_div_scale_f32 v39, null, v29, v29, v2
	v_fma_f32 v28, -v26, v12, v18
	v_mul_f32_e32 v31, v35, v34
	v_div_scale_f32 v11, s2, v19, v27, v19
	v_fmac_f32_e32 v38, v37, v38
	v_rcp_f32_e32 v37, v39
	v_fmac_f32_e32 v12, v28, v14
	v_fma_f32 v28, -v32, v31, v35
	v_mul_f32_e32 v40, v11, v36
	v_div_scale_f32 v41, s3, v8, v22, v8
	v_div_fmas_f32 v23, v24, v23, v33
	v_fmac_f32_e32 v31, v28, v34
	v_fma_f32 v24, -v30, v40, v11
	ds_swizzle_b32 v20, v3 offset:swizzle(BROADCAST,32,15)
	v_fma_f32 v28, -v39, v37, 1.0
	v_fma_f32 v18, -v26, v12, v18
	v_mul_f32_e32 v26, v41, v38
	s_mov_b32 vcc_lo, s0
	v_fmac_f32_e32 v40, v24, v36
	v_fmac_f32_e32 v37, v28, v37
	v_div_scale_f32 v24, s0, v2, v29, v2
	v_div_fmas_f32 v12, v18, v14, v12
	v_fma_f32 v18, -v21, v26, v41
	v_fma_f32 v14, -v32, v31, v35
	v_mul_f32_e32 v28, v24, v37
	v_fma_f32 v11, -v30, v40, v11
	s_mov_b32 vcc_lo, s1
	v_fmac_f32_e32 v26, v18, v38
	v_div_fmas_f32 v14, v14, v34, v31
	v_fma_f32 v18, -v39, v28, v24
	s_mov_b32 vcc_lo, s2
	v_add_f32_e32 v9, v9, v16
	v_div_fmas_f32 v11, v11, v36, v40
	v_fma_f32 v16, -v21, v26, v41
	v_fmac_f32_e32 v28, v18, v37
	s_mov_b32 vcc_lo, s3
	s_waitcnt lgkmcnt(0)
	v_add_f32_e32 v3, v3, v20
	v_div_fixup_f32 v11, v11, v27, v19
	v_div_fmas_f32 v16, v16, v38, v26
	v_div_fixup_f32 v1, v12, v22, v1
	v_fma_f32 v12, -v39, v28, v24
	s_mov_b32 vcc_lo, s0
	v_add_f32_e32 v6, v6, v17
	v_add_f32_e32 v3, v3, v11
	v_div_fixup_f32 v8, v16, v22, v8
	v_div_fmas_f32 v11, v12, v37, v28
	v_div_fixup_f32 v12, v23, v29, v15
	v_add_f32_e32 v1, v6, v1
	v_div_fixup_f32 v6, v14, v29, v13
	v_add_f32_e32 v3, v8, v3
	v_div_fixup_f32 v2, v11, v29, v2
	v_mov_b32_e32 v8, 0
	v_add_f32_e32 v10, v10, v25
	v_add_f32_e32 v9, v9, v12
	;; [unrolled: 1-line block ×4, first 2 shown]
	ds_bpermute_b32 v1, v8, v29 offset:124
	ds_bpermute_b32 v2, v8, v4 offset:124
	;; [unrolled: 1-line block ×7, first 2 shown]
	s_mov_b32 s0, exec_lo
	v_cmpx_eq_u32_e32 0, v5
	s_cbranch_execz .LBB8_3
; %bb.2:
	v_lshrrev_b32_e32 v6, 5, v0
	v_mul_u32_u24_e32 v6, 28, v6
	s_waitcnt lgkmcnt(5)
	ds_write2_b32 v6, v1, v2 offset0:56 offset1:57
	s_waitcnt lgkmcnt(4)
	ds_write2_b32 v6, v3, v4 offset0:58 offset1:59
	;; [unrolled: 2-line block ×3, first 2 shown]
	s_waitcnt lgkmcnt(3)
	ds_write_b32 v6, v11 offset:248
.LBB8_3:
	s_or_b32 exec_lo, exec_lo, s0
	s_mov_b32 s4, exec_lo
	s_waitcnt lgkmcnt(0)
	s_barrier
	buffer_gl0_inv
	v_cmpx_gt_u32_e32 32, v0
	s_cbranch_execz .LBB8_5
; %bb.4:
	v_and_b32_e32 v8, 7, v5
	v_lshlrev_b32_e32 v17, 2, v5
	v_mul_u32_u24_e32 v9, 28, v8
	v_cmp_ne_u32_e32 vcc_lo, 7, v8
	v_or_b32_e32 v17, 16, v17
	ds_read2_b32 v[1:2], v9 offset0:56 offset1:57
	ds_read2_b32 v[3:4], v9 offset0:58 offset1:59
	;; [unrolled: 1-line block ×3, first 2 shown]
	v_add_co_ci_u32_e64 v10, null, 0, v5, vcc_lo
	v_cmp_gt_u32_e32 vcc_lo, 6, v8
	ds_read_b32 v9, v9 offset:248
	v_lshlrev_b32_e32 v10, 2, v10
	v_cndmask_b32_e64 v8, 0, 2, vcc_lo
	v_add_lshl_u32 v8, v8, v5, 2
	s_waitcnt lgkmcnt(3)
	ds_bpermute_b32 v13, v10, v2
	s_waitcnt lgkmcnt(3)
	ds_bpermute_b32 v12, v10, v4
	ds_bpermute_b32 v14, v10, v3
	;; [unrolled: 1-line block ×3, first 2 shown]
	s_waitcnt lgkmcnt(5)
	ds_bpermute_b32 v15, v10, v6
	ds_bpermute_b32 v16, v10, v7
	v_mul_f32_e32 v18, v1, v1
	s_waitcnt lgkmcnt(6)
	ds_bpermute_b32 v10, v10, v9
	s_waitcnt lgkmcnt(6)
	v_cmp_gt_f32_e32 vcc_lo, v2, v13
	s_waitcnt lgkmcnt(5)
	v_sub_f32_e32 v12, v12, v4
	s_waitcnt lgkmcnt(3)
	v_add_f32_e32 v19, v1, v11
	v_mul_f32_e32 v21, v6, v11
	v_cndmask_b32_e32 v2, v2, v13, vcc_lo
	v_cmp_lt_f32_e32 vcc_lo, v3, v14
	v_fma_f32 v22, -v1, v11, v18
	v_mul_f32_e32 v23, v11, v11
	s_waitcnt lgkmcnt(2)
	v_mul_f32_e32 v18, v18, v15
	v_mul_f32_e32 v25, v12, v12
	v_cndmask_b32_e32 v3, v3, v14, vcc_lo
	s_waitcnt lgkmcnt(1)
	v_add_f32_e32 v14, v7, v16
	v_mul_f32_e32 v7, v7, v11
	v_mul_f32_e32 v26, v12, v11
	v_add_f32_e32 v13, v6, v15
	v_fma_f32 v15, v1, v15, -v21
	v_fmac_f32_e32 v18, v6, v23
	v_mul_f32_e32 v6, 4.0, v12
	v_fma_f32 v7, v1, v16, -v7
	v_mul_f32_e32 v21, v12, v25
	v_div_scale_f32 v23, null, v19, v19, v26
	v_mul_f32_e32 v27, 0x40400000, v12
	v_mul_f32_e32 v29, v1, v25
	;; [unrolled: 1-line block ×4, first 2 shown]
	v_rcp_f32_e32 v12, v23
	v_mul_f32_e32 v15, v27, v15
	v_mul_f32_e32 v27, v29, v11
	;; [unrolled: 1-line block ×3, first 2 shown]
	v_sub_f32_e32 v20, v1, v11
	v_mul_f32_e32 v1, v1, v7
	v_mul_f32_e32 v24, v19, v19
	v_div_scale_f32 v31, null, v19, v19, v27
	v_mul_f32_e32 v21, v21, v11
	v_fma_f32 v34, -v23, v12, 1.0
	v_fmac_f32_e32 v22, v11, v11
	v_div_scale_f32 v28, vcc_lo, v26, v19, v26
	v_rcp_f32_e32 v7, v31
	v_mul_f32_e32 v20, v20, v21
	v_mul_f32_e32 v1, v1, v11
	v_fmac_f32_e32 v12, v34, v12
	v_div_scale_f32 v29, null, v19, v19, v15
	v_div_scale_f32 v35, null, v24, v24, v20
	v_mul_f32_e32 v1, v22, v1
	v_mul_f32_e32 v22, v28, v12
	v_fma_f32 v34, -v31, v7, 1.0
	v_rcp_f32_e32 v36, v35
	v_div_scale_f32 v32, s1, v27, v19, v27
	v_fma_f32 v39, -v23, v22, v28
	v_rcp_f32_e32 v33, v29
	v_fmac_f32_e32 v7, v34, v7
	v_mul_f32_e32 v16, v19, v24
	v_div_scale_f32 v37, s2, v20, v24, v20
	v_fmac_f32_e32 v22, v39, v12
	v_mul_f32_e32 v40, v32, v7
	v_fma_f32 v41, -v35, v36, 1.0
	v_mul_f32_e32 v25, 0x40c00000, v25
	v_div_scale_f32 v30, s0, v15, v19, v15
	v_fma_f32 v23, -v23, v22, v28
	v_fma_f32 v34, -v29, v33, 1.0
	v_fma_f32 v39, -v31, v40, v32
	v_fmac_f32_e32 v36, v41, v36
	v_div_scale_f32 v38, null, v16, v16, v1
	v_div_fmas_f32 v12, v23, v12, v22
	v_fmac_f32_e32 v33, v34, v33
	v_fmac_f32_e32 v40, v39, v7
	v_mul_f32_e32 v28, v37, v36
	v_mul_f32_e32 v18, v25, v18
	v_div_fixup_f32 v12, v12, v19, v26
	v_rcp_f32_e32 v34, v38
	v_mul_f32_e32 v22, v30, v33
	v_fma_f32 v31, -v31, v40, v32
	v_fma_f32 v32, -v35, v28, v37
	v_add_f32_e32 v4, v4, v12
	s_mov_b32 vcc_lo, s1
	v_div_scale_f32 v21, null, v24, v24, v18
	v_div_fmas_f32 v7, v31, v7, v40
	v_fmac_f32_e32 v28, v32, v36
	v_fma_f32 v26, -v29, v22, v30
	ds_bpermute_b32 v31, v8, v4
	v_div_scale_f32 v25, null, v19, v19, v6
	v_rcp_f32_e32 v11, v21
	v_fma_f32 v23, -v38, v34, 1.0
	v_fma_f32 v12, -v35, v28, v37
	v_fmac_f32_e32 v22, v26, v33
	ds_bpermute_b32 v26, v8, v19
	s_mov_b32 vcc_lo, s2
	v_div_scale_f32 v41, s3, v1, v16, v1
	v_fmac_f32_e32 v34, v23, v34
	v_div_fixup_f32 v7, v7, v19, v27
	v_rcp_f32_e32 v27, v25
	v_div_fmas_f32 v12, v12, v36, v28
	v_fma_f32 v23, -v21, v11, 1.0
	v_mul_f32_e32 v28, v41, v34
	s_mov_b32 vcc_lo, s0
	s_waitcnt lgkmcnt(2)
	v_add_f32_e32 v9, v9, v10
	v_div_fixup_f32 v12, v12, v24, v20
	v_fma_f32 v20, -v29, v22, v30
	v_fmac_f32_e32 v11, v23, v11
	v_div_scale_f32 v23, s1, v18, v24, v18
	v_fma_f32 v32, -v25, v27, 1.0
	v_fma_f32 v29, -v38, v28, v41
	v_div_fmas_f32 v20, v20, v33, v22
	s_waitcnt lgkmcnt(1)
	v_sub_f32_e32 v22, v31, v4
	v_mul_f32_e32 v30, v23, v11
	v_fmac_f32_e32 v27, v32, v27
	v_div_scale_f32 v32, s2, v6, v19, v6
	v_fmac_f32_e32 v28, v29, v34
	s_waitcnt lgkmcnt(0)
	v_add_f32_e32 v33, v19, v26
	v_mul_f32_e32 v35, v22, v26
	v_fma_f32 v29, -v21, v30, v23
	v_mul_f32_e32 v31, v32, v27
	v_fma_f32 v36, -v38, v28, v41
	s_mov_b32 vcc_lo, s3
	v_div_scale_f32 v37, null, v33, v33, v35
	v_fmac_f32_e32 v30, v29, v11
	v_fma_f32 v29, -v25, v31, v32
	v_div_fmas_f32 v28, v36, v34, v28
	v_rcp_f32_e32 v10, v37
	s_mov_b32 vcc_lo, s1
	v_fma_f32 v21, -v21, v30, v23
	v_fmac_f32_e32 v31, v29, v27
	v_div_fixup_f32 v1, v28, v16, v1
	v_add_f32_e32 v12, v14, v12
	v_div_fixup_f32 v15, v20, v19, v15
	v_div_fmas_f32 v11, v21, v11, v30
	v_fma_f32 v16, -v25, v31, v32
	v_add_f32_e32 v1, v9, v1
	v_fma_f32 v21, -v37, v10, 1.0
	v_mul_f32_e32 v9, v22, v22
	s_mov_b32 vcc_lo, s2
	v_div_fixup_f32 v11, v11, v24, v18
	v_div_fmas_f32 v16, v16, v27, v31
	v_fmac_f32_e32 v10, v21, v10
	v_div_scale_f32 v14, vcc_lo, v35, v33, v35
	v_mul_f32_e32 v18, v19, v9
	v_add_f32_e32 v1, v11, v1
	v_div_fixup_f32 v6, v16, v19, v6
	v_mul_f32_e32 v11, v14, v10
	v_add_f32_e32 v7, v13, v7
	v_mul_f32_e32 v13, v18, v26
	v_add_f32_e32 v12, v15, v12
	v_add_f32_e32 v1, v6, v1
	v_fma_f32 v6, -v37, v11, v14
	ds_bpermute_b32 v20, v8, v7
	v_div_scale_f32 v15, null, v33, v33, v13
	v_mul_f32_e32 v21, v22, v9
	v_fmac_f32_e32 v11, v6, v10
	ds_bpermute_b32 v16, v8, v2
	v_rcp_f32_e32 v6, v15
	v_mul_f32_e32 v30, 0x40400000, v22
	v_mul_f32_e32 v27, v19, v21
	v_fma_f32 v14, -v37, v11, v14
	v_mul_f32_e32 v21, v22, v21
	v_mul_f32_e32 v25, v33, v33
	ds_bpermute_b32 v23, v8, v12
	v_mul_f32_e32 v9, 0x40c00000, v9
	v_div_fmas_f32 v10, v14, v10, v11
	v_mul_f32_e32 v14, v27, v26
	v_fma_f32 v11, -v15, v6, 1.0
	v_sub_f32_e32 v27, v19, v26
	v_mul_f32_e32 v21, v19, v21
	v_div_fixup_f32 v10, v10, v33, v35
	v_mul_f32_e32 v28, v33, v25
	v_fmac_f32_e32 v6, v11, v6
	v_mul_f32_e32 v11, v27, v14
	v_mul_f32_e32 v14, v7, v26
	v_div_scale_f32 v27, vcc_lo, v13, v33, v13
	v_add_f32_e32 v4, v4, v10
	v_div_scale_f32 v29, null, v25, v25, v11
	s_waitcnt lgkmcnt(2)
	v_fma_f32 v14, v19, v20, -v14
	v_mul_f32_e32 v10, v27, v6
	s_waitcnt lgkmcnt(1)
	v_cmp_gt_f32_e64 s0, v2, v16
	v_mul_f32_e32 v21, v21, v26
	v_add_f32_e32 v34, v7, v20
	v_mul_f32_e32 v14, v30, v14
	v_fma_f32 v30, -v19, v26, v24
	v_fma_f32 v31, -v15, v10, v27
	v_cndmask_b32_e64 v2, v2, v16, s0
	v_rcp_f32_e32 v16, v29
	v_mul_f32_e32 v20, v24, v20
	v_fmac_f32_e32 v30, v26, v26
	v_fmac_f32_e32 v10, v31, v6
	v_div_scale_f32 v32, null, v33, v33, v14
	v_div_scale_f32 v24, s0, v11, v25, v11
	v_mul_f32_e32 v21, v30, v21
	v_fma_f32 v15, -v15, v10, v27
	v_mul_f32_e32 v27, v26, v26
	v_fma_f32 v31, -v29, v16, 1.0
	v_rcp_f32_e32 v35, v32
	v_div_scale_f32 v30, null, v28, v28, v21
	v_fmac_f32_e32 v20, v27, v7
	v_fmac_f32_e32 v16, v31, v16
	v_div_fmas_f32 v6, v15, v6, v10
	v_rcp_f32_e32 v36, v30
	v_mul_f32_e32 v26, v12, v26
	v_mul_f32_e32 v9, v9, v20
	;; [unrolled: 1-line block ×3, first 2 shown]
	v_fma_f32 v31, -v32, v35, 1.0
	v_mul_f32_e32 v22, 4.0, v22
	s_waitcnt lgkmcnt(0)
	v_fma_f32 v19, v19, v23, -v26
	v_div_scale_f32 v20, null, v25, v25, v9
	v_fma_f32 v27, -v29, v7, v24
	v_fma_f32 v15, -v30, v36, 1.0
	v_fmac_f32_e32 v35, v31, v35
	v_div_scale_f32 v10, s1, v14, v33, v14
	v_fmac_f32_e32 v7, v27, v16
	v_fmac_f32_e32 v36, v15, v36
	v_rcp_f32_e32 v15, v20
	v_mul_f32_e32 v19, v22, v19
	v_mul_f32_e32 v31, v10, v35
	v_div_scale_f32 v26, s2, v21, v28, v21
	v_fma_f32 v24, -v29, v7, v24
	v_div_scale_f32 v37, null, v33, v33, v19
	s_mov_b32 vcc_lo, s0
	v_add_f32_e32 v12, v12, v23
	v_fma_f32 v27, -v20, v15, 1.0
	v_fma_f32 v22, -v32, v31, v10
	v_mul_f32_e32 v23, v26, v36
	v_div_fmas_f32 v7, v24, v16, v7
	ds_bpermute_b32 v16, v17, v4
	v_fmac_f32_e32 v15, v27, v15
	v_rcp_f32_e32 v27, v37
	ds_bpermute_b32 v18, v8, v3
	ds_bpermute_b32 v8, v8, v1
	v_fmac_f32_e32 v31, v22, v35
	v_fma_f32 v22, -v30, v23, v26
	v_div_scale_f32 v29, s3, v9, v25, v9
	ds_bpermute_b32 v24, v17, v33
	v_fma_f32 v10, -v32, v31, v10
	v_fmac_f32_e32 v23, v22, v36
	v_mul_f32_e32 v22, v29, v15
	v_fma_f32 v32, -v37, v27, 1.0
	s_mov_b32 vcc_lo, s1
	v_div_fixup_f32 v7, v7, v25, v11
	v_div_fmas_f32 v10, v10, v35, v31
	v_fma_f32 v26, -v30, v23, v26
	v_fma_f32 v30, -v20, v22, v29
	v_fmac_f32_e32 v27, v32, v27
	v_div_scale_f32 v31, s0, v19, v33, v19
	s_mov_b32 vcc_lo, s2
	v_fmac_f32_e32 v22, v30, v15
	v_div_fmas_f32 v23, v26, v36, v23
	v_mul_f32_e32 v26, v31, v27
	s_waitcnt lgkmcnt(3)
	v_sub_f32_e32 v16, v16, v4
	s_waitcnt lgkmcnt(1)
	v_add_f32_e32 v8, v1, v8
	v_fma_f32 v20, -v20, v22, v29
	v_div_fixup_f32 v21, v23, v28, v21
	v_fma_f32 v23, -v37, v26, v31
	s_waitcnt lgkmcnt(0)
	v_add_f32_e32 v1, v33, v24
	v_mul_f32_e32 v28, v16, v24
	s_mov_b32 vcc_lo, s3
	v_add_f32_e32 v8, v8, v21
	v_div_fmas_f32 v15, v20, v15, v22
	v_fmac_f32_e32 v26, v23, v27
	v_div_scale_f32 v20, null, v1, v1, v28
	s_mov_b32 vcc_lo, s0
	v_div_fixup_f32 v9, v15, v25, v9
	v_fma_f32 v11, -v37, v26, v31
	v_rcp_f32_e32 v15, v20
	v_add_f32_e32 v7, v12, v7
	v_div_fixup_f32 v10, v10, v33, v14
	v_add_f32_e32 v8, v9, v8
	v_div_fmas_f32 v11, v11, v27, v26
	v_cmp_lt_f32_e32 vcc_lo, v3, v18
	v_div_fixup_f32 v6, v6, v33, v13
	v_add_f32_e32 v7, v10, v7
	v_sub_f32_e32 v30, v33, v24
	v_div_fixup_f32 v9, v11, v33, v19
	v_fma_f32 v11, -v20, v15, 1.0
	v_cndmask_b32_e32 v3, v3, v18, vcc_lo
	v_div_scale_f32 v10, vcc_lo, v28, v1, v28
	v_add_f32_e32 v6, v34, v6
	v_fmac_f32_e32 v15, v11, v15
	ds_bpermute_b32 v11, v17, v2
	v_add_f32_e32 v8, v9, v8
	v_mul_f32_e32 v9, v16, v16
	ds_bpermute_b32 v14, v17, v6
	v_mul_f32_e32 v18, v10, v15
	v_mul_f32_e32 v22, v1, v1
	ds_bpermute_b32 v19, v17, v7
	v_mul_f32_e32 v12, v33, v9
	v_mul_f32_e32 v21, v16, v9
	v_fma_f32 v23, -v20, v18, v10
	v_mul_f32_e32 v29, v1, v22
	v_mul_f32_e32 v9, 0x40c00000, v9
	;; [unrolled: 1-line block ×4, first 2 shown]
	v_fmac_f32_e32 v18, v23, v15
	v_mul_f32_e32 v21, v16, v21
	ds_bpermute_b32 v13, v17, v3
	v_div_scale_f32 v26, null, v1, v1, v12
	v_fma_f32 v10, -v20, v18, v10
	v_mul_f32_e32 v27, v27, v24
	s_waitcnt lgkmcnt(3)
	v_cmp_gt_f32_e64 s0, v2, v11
	v_rcp_f32_e32 v23, v26
	v_mul_f32_e32 v21, v33, v21
	v_div_fmas_f32 v10, v10, v15, v18
	v_mul_f32_e32 v15, v6, v24
	v_cndmask_b32_e64 v2, v2, v11, s0
	v_mul_f32_e32 v11, v30, v27
	v_mul_f32_e32 v27, 0x40400000, v16
	;; [unrolled: 1-line block ×3, first 2 shown]
	s_waitcnt lgkmcnt(2)
	v_fma_f32 v15, v33, v14, -v15
	v_div_fixup_f32 v10, v10, v1, v28
	v_div_scale_f32 v20, null, v22, v22, v11
	v_fma_f32 v18, -v26, v23, 1.0
	v_mul_f32_e32 v15, v27, v15
	v_fma_f32 v27, -v33, v24, v25
	v_rcp_f32_e32 v30, v20
	v_mul_f32_e32 v25, v25, v14
	v_fmac_f32_e32 v23, v18, v23
	v_div_scale_f32 v18, vcc_lo, v12, v1, v12
	v_fmac_f32_e32 v27, v24, v24
	v_div_scale_f32 v32, null, v1, v1, v15
	v_mul_f32_e32 v31, v18, v23
	v_mul_f32_e32 v16, 4.0, v16
	v_mul_f32_e32 v21, v27, v21
	v_mul_f32_e32 v27, v24, v24
	v_fma_f32 v34, -v20, v30, 1.0
	v_fma_f32 v28, -v26, v31, v18
	v_mul_f32_e32 v24, v7, v24
	v_rcp_f32_e32 v35, v32
	v_fmac_f32_e32 v25, v27, v6
	v_fmac_f32_e32 v30, v34, v30
	v_div_scale_f32 v34, null, v29, v29, v21
	v_fmac_f32_e32 v31, v28, v23
	v_mul_f32_e32 v9, v9, v25
	s_waitcnt lgkmcnt(1)
	v_fma_f32 v24, v33, v19, -v24
	v_rcp_f32_e32 v37, v34
	v_div_scale_f32 v27, s0, v11, v22, v11
	v_div_scale_f32 v28, null, v22, v22, v9
	v_mul_f32_e32 v16, v16, v24
	v_fma_f32 v36, -v32, v35, 1.0
	v_mul_f32_e32 v25, v27, v30
	v_rcp_f32_e32 v39, v28
	v_fma_f32 v18, -v26, v31, v18
	v_fma_f32 v38, -v34, v37, 1.0
	v_div_scale_f32 v40, null, v1, v1, v16
	v_fmac_f32_e32 v35, v36, v35
	v_div_scale_f32 v36, s1, v15, v1, v15
	v_fmac_f32_e32 v37, v38, v37
	v_fma_f32 v26, -v20, v25, v27
	v_fma_f32 v38, -v28, v39, 1.0
	v_div_scale_f32 v24, s2, v21, v29, v21
	v_mul_f32_e32 v33, v36, v35
	v_fmac_f32_e32 v25, v26, v30
	v_fmac_f32_e32 v39, v38, v39
	v_rcp_f32_e32 v38, v40
	v_mul_f32_e32 v41, v24, v37
	v_fma_f32 v26, -v32, v33, v36
	v_div_scale_f32 v42, s3, v9, v22, v9
	v_div_fmas_f32 v18, v18, v23, v31
	v_fma_f32 v20, -v20, v25, v27
	v_fma_f32 v23, -v34, v41, v24
	v_fmac_f32_e32 v33, v26, v35
	ds_bpermute_b32 v17, v17, v8
	v_fma_f32 v27, -v40, v38, 1.0
	v_mul_f32_e32 v26, v42, v39
	s_mov_b32 vcc_lo, s0
	v_fmac_f32_e32 v41, v23, v37
	v_div_fmas_f32 v20, v20, v30, v25
	v_fmac_f32_e32 v38, v27, v38
	v_div_scale_f32 v27, s0, v16, v1, v16
	v_fma_f32 v25, -v32, v33, v36
	v_fma_f32 v23, -v28, v26, v42
	;; [unrolled: 1-line block ×3, first 2 shown]
	v_mul_f32_e32 v30, v27, v38
	s_mov_b32 vcc_lo, s1
	v_add_f32_e32 v6, v6, v14
	v_div_fmas_f32 v25, v25, v35, v33
	s_mov_b32 vcc_lo, s2
	v_fmac_f32_e32 v26, v23, v39
	v_div_fmas_f32 v23, v24, v37, v41
	v_fma_f32 v24, -v40, v30, v27
	s_mov_b32 vcc_lo, s3
	s_waitcnt lgkmcnt(0)
	v_add_f32_e32 v8, v8, v17
	v_fma_f32 v14, -v28, v26, v42
	v_div_fixup_f32 v17, v23, v29, v21
	v_fmac_f32_e32 v30, v24, v38
	v_add_f32_e32 v7, v7, v19
	v_div_fixup_f32 v11, v20, v22, v11
	v_div_fmas_f32 v14, v14, v39, v26
	s_mov_b32 vcc_lo, s0
	v_fma_f32 v19, -v40, v30, v27
	v_add_f32_e32 v8, v8, v17
	v_div_fixup_f32 v12, v18, v1, v12
	v_div_fixup_f32 v9, v14, v22, v9
	v_add_f32_e32 v7, v7, v11
	v_div_fmas_f32 v14, v19, v38, v30
	v_div_fixup_f32 v11, v25, v1, v15
	v_cmp_lt_f32_e32 vcc_lo, v3, v13
	v_add_f32_e32 v8, v9, v8
	v_add_f32_e32 v4, v4, v10
	v_div_fixup_f32 v14, v14, v1, v16
	v_add_f32_e32 v9, v6, v12
	v_cndmask_b32_e32 v3, v3, v13, vcc_lo
	v_add_f32_e32 v10, v11, v7
	v_add_f32_e32 v11, v14, v8
.LBB8_5:
	s_or_b32 exec_lo, exec_lo, s4
	s_branch .LBB8_32
.LBB8_6:
                                        ; implicit-def: $vgpr1
                                        ; implicit-def: $vgpr9
	s_cbranch_execz .LBB8_32
; %bb.7:
	s_sub_i32 s7, s12, s10
	s_mov_b32 s0, exec_lo
                                        ; implicit-def: $vgpr11
                                        ; implicit-def: $vgpr4
	v_cmpx_gt_u32_e64 s7, v0
	s_cbranch_execz .LBB8_9
; %bb.8:
	v_mad_u64_u32 v[6:7], null, v0, 28, s[8:9]
	s_clause 0x1
	global_load_dwordx4 v[1:4], v[6:7], off
	global_load_dwordx3 v[9:11], v[6:7], off offset:16
.LBB8_9:
	s_or_b32 exec_lo, exec_lo, s0
	v_or_b32_e32 v6, 0x100, v0
	s_mov_b32 s10, exec_lo
	v_cmpx_gt_u32_e64 s7, v6
	s_cbranch_execz .LBB8_11
; %bb.10:
	v_mad_u64_u32 v[6:7], null, v6, 28, s[8:9]
	s_waitcnt vmcnt(1)
	v_mul_f32_e32 v16, v1, v1
	s_clause 0x1
	global_load_dwordx4 v[12:15], v[6:7], off
	global_load_dwordx3 v[6:8], v[6:7], off offset:16
	s_waitcnt vmcnt(1)
	v_sub_f32_e32 v15, v15, v4
	v_cmp_lt_f32_e32 vcc_lo, v13, v2
	v_mul_f32_e32 v21, v9, v12
	v_mul_f32_e32 v17, v12, v12
	s_waitcnt vmcnt(0)
	v_add_f32_e32 v19, v10, v7
	v_add_f32_e32 v8, v11, v8
	v_cndmask_b32_e32 v2, v2, v13, vcc_lo
	v_add_f32_e32 v13, v9, v6
	v_fma_f32 v11, -v1, v12, v16
	v_mul_f32_e32 v16, v16, v6
	v_mul_f32_e32 v10, v10, v12
	;; [unrolled: 1-line block ×4, first 2 shown]
	v_fma_f32 v6, v1, v6, -v21
	v_add_f32_e32 v18, v1, v12
	v_mul_f32_e32 v24, v12, v15
	v_fmac_f32_e32 v16, v9, v17
	v_mul_f32_e32 v9, 4.0, v15
	v_fma_f32 v7, v1, v7, -v10
	v_mul_f32_e32 v17, v15, v23
	v_mul_f32_e32 v27, v1, v23
	;; [unrolled: 1-line block ×3, first 2 shown]
	v_div_scale_f32 v21, null, v18, v18, v24
	v_mul_f32_e32 v23, 0x40c00000, v23
	v_mul_f32_e32 v7, v9, v7
	v_mul_f32_e32 v9, v15, v17
	v_mul_f32_e32 v25, v12, v27
	v_mul_f32_e32 v17, v1, v17
	v_div_scale_f32 v27, null, v18, v18, v6
	v_sub_f32_e32 v20, v1, v12
	v_mul_f32_e32 v22, v18, v18
	v_rcp_f32_e32 v15, v21
	v_mul_f32_e32 v16, v23, v16
	v_div_scale_f32 v23, null, v18, v18, v7
	v_mul_f32_e32 v17, v12, v17
	v_rcp_f32_e32 v32, v27
	v_mul_f32_e32 v1, v1, v9
	v_fmac_f32_e32 v11, v12, v12
	v_div_scale_f32 v30, null, v18, v18, v25
	v_div_scale_f32 v9, null, v22, v22, v16
	v_rcp_f32_e32 v34, v23
	v_mul_f32_e32 v17, v20, v17
	v_mul_f32_e32 v1, v12, v1
	;; [unrolled: 1-line block ×3, first 2 shown]
	v_fma_f32 v35, -v21, v15, 1.0
	v_rcp_f32_e32 v36, v30
	v_rcp_f32_e32 v12, v9
	v_div_scale_f32 v20, null, v22, v22, v17
	v_fma_f32 v37, -v27, v32, 1.0
	v_mul_f32_e32 v1, v11, v1
	v_div_scale_f32 v26, vcc_lo, v24, v18, v24
	v_fmac_f32_e32 v15, v35, v15
	v_fma_f32 v11, -v23, v34, 1.0
	v_rcp_f32_e32 v40, v20
	v_fmac_f32_e32 v32, v37, v32
	v_div_scale_f32 v37, null, v10, v10, v1
	v_div_scale_f32 v29, s1, v7, v18, v7
	v_mul_f32_e32 v38, v26, v15
	v_fma_f32 v39, -v30, v36, 1.0
	v_fma_f32 v42, -v9, v12, 1.0
	v_fmac_f32_e32 v34, v11, v34
	v_rcp_f32_e32 v43, v37
	v_div_scale_f32 v31, s2, v25, v18, v25
	v_fma_f32 v11, -v21, v38, v26
	v_fmac_f32_e32 v36, v39, v36
	v_fmac_f32_e32 v12, v42, v12
	v_mul_f32_e32 v42, v29, v34
	v_fma_f32 v44, -v20, v40, 1.0
	v_div_scale_f32 v28, s0, v6, v18, v6
	v_div_scale_f32 v35, s4, v17, v22, v17
	v_fmac_f32_e32 v38, v11, v15
	v_mul_f32_e32 v11, v31, v36
	v_fma_f32 v47, -v23, v42, v29
	v_fmac_f32_e32 v40, v44, v40
	v_fma_f32 v44, -v37, v43, 1.0
	v_mul_f32_e32 v39, v28, v32
	v_div_scale_f32 v41, s5, v1, v10, v1
	v_fma_f32 v21, -v21, v38, v26
	v_fma_f32 v26, -v30, v11, v31
	v_fmac_f32_e32 v42, v47, v34
	v_mul_f32_e32 v47, v35, v40
	v_fmac_f32_e32 v43, v44, v43
	v_fma_f32 v45, -v27, v39, v28
	v_div_scale_f32 v33, s3, v16, v22, v16
	v_div_fmas_f32 v15, v21, v15, v38
	v_fmac_f32_e32 v11, v26, v36
	v_fma_f32 v21, -v20, v47, v35
	v_mul_f32_e32 v26, v41, v43
	v_fmac_f32_e32 v39, v45, v32
	v_mul_f32_e32 v46, v33, v12
	s_mov_b32 vcc_lo, s2
	v_fmac_f32_e32 v47, v21, v40
	v_fma_f32 v21, -v37, v26, v41
	v_fma_f32 v27, -v27, v39, v28
	;; [unrolled: 1-line block ×5, first 2 shown]
	v_fmac_f32_e32 v26, v21, v43
	v_fma_f32 v23, -v23, v42, v29
	v_div_fmas_f32 v11, v28, v36, v11
	s_mov_b32 vcc_lo, s4
	v_fmac_f32_e32 v46, v45, v12
	v_div_fmas_f32 v20, v20, v40, v47
	v_fma_f32 v21, -v37, v26, v41
	s_mov_b32 vcc_lo, s0
	v_div_fixup_f32 v11, v11, v18, v25
	v_div_fmas_f32 v25, v27, v32, v39
	s_mov_b32 vcc_lo, s5
	v_fma_f32 v9, -v9, v46, v33
	v_div_fixup_f32 v17, v20, v22, v17
	v_div_fmas_f32 v20, v21, v43, v26
	s_mov_b32 vcc_lo, s3
	v_div_fixup_f32 v6, v25, v18, v6
	v_div_fmas_f32 v9, v9, v12, v46
	s_mov_b32 vcc_lo, s1
	v_div_fixup_f32 v1, v20, v10, v1
	v_div_fmas_f32 v10, v23, v34, v42
	v_add_f32_e32 v12, v19, v17
	v_div_fixup_f32 v9, v9, v22, v16
	v_add_f32_e32 v11, v13, v11
	v_add_f32_e32 v1, v8, v1
	v_div_fixup_f32 v8, v15, v18, v24
	v_div_fixup_f32 v7, v10, v18, v7
	v_cmp_lt_f32_e32 vcc_lo, v3, v14
	v_add_f32_e32 v10, v6, v12
	v_add_f32_e32 v1, v9, v1
	;; [unrolled: 1-line block ×3, first 2 shown]
	v_mov_b32_e32 v9, v11
	v_cndmask_b32_e32 v3, v3, v14, vcc_lo
	v_add_f32_e32 v11, v7, v1
	v_mov_b32_e32 v1, v18
.LBB8_11:
	s_or_b32 exec_lo, exec_lo, s10
	v_cmp_ne_u32_e32 vcc_lo, 31, v5
	s_min_u32 s4, s7, 0x100
	v_add_nc_u32_e32 v17, 1, v5
	s_mov_b32 s0, exec_lo
	v_add_co_ci_u32_e64 v6, null, 0, v5, vcc_lo
	v_lshlrev_b32_e32 v6, 2, v6
	s_waitcnt vmcnt(1)
	ds_bpermute_b32 v13, v6, v1
	ds_bpermute_b32 v15, v6, v2
	;; [unrolled: 1-line block ×4, first 2 shown]
	s_waitcnt vmcnt(0)
	ds_bpermute_b32 v14, v6, v9
	ds_bpermute_b32 v12, v6, v10
	;; [unrolled: 1-line block ×3, first 2 shown]
	v_and_b32_e32 v6, 0xe0, v0
	v_sub_nc_u32_e64 v6, s4, v6 clamp
	v_cmpx_lt_u32_e64 v17, v6
	s_xor_b32 s5, exec_lo, s0
	s_cbranch_execz .LBB8_13
; %bb.12:
	s_waitcnt lgkmcnt(3)
	v_sub_f32_e32 v16, v16, v4
	v_add_f32_e32 v17, v1, v13
	v_cmp_gt_f32_e32 vcc_lo, v2, v15
	v_sub_f32_e32 v20, v1, v13
	v_mul_f32_e32 v21, v9, v13
	v_mul_f32_e32 v18, v16, v13
	;; [unrolled: 1-line block ×3, first 2 shown]
	v_cndmask_b32_e32 v2, v2, v15, vcc_lo
	v_mul_f32_e32 v24, v1, v1
	v_mul_f32_e32 v28, 0x40400000, v16
	v_div_scale_f32 v22, null, v17, v17, v18
	v_mul_f32_e32 v23, v1, v19
	v_mul_f32_e32 v26, v16, v19
	v_div_scale_f32 v35, vcc_lo, v18, v17, v18
	v_rcp_f32_e32 v27, v22
	v_mul_f32_e32 v23, v23, v13
	v_mul_f32_e32 v29, v1, v26
	v_mul_f32_e32 v26, v16, v26
	s_waitcnt lgkmcnt(2)
	v_fma_f32 v21, v1, v14, -v21
	v_fma_f32 v31, -v1, v13, v24
	v_div_scale_f32 v30, null, v17, v17, v23
	v_mul_f32_e32 v29, v29, v13
	v_mul_f32_e32 v26, v1, v26
	v_fma_f32 v33, -v22, v27, 1.0
	v_rcp_f32_e32 v34, v30
	v_mul_f32_e32 v25, v17, v17
	v_mul_f32_e32 v20, v20, v29
	v_mul_f32_e32 v21, v28, v21
	v_fmac_f32_e32 v27, v33, v27
	v_fmac_f32_e32 v31, v13, v13
	v_mul_f32_e32 v26, v26, v13
	v_mul_f32_e32 v32, v17, v25
	v_div_scale_f32 v28, null, v25, v25, v20
	v_mul_f32_e32 v29, v35, v27
	v_fma_f32 v33, -v30, v34, 1.0
	v_mul_f32_e32 v26, v31, v26
	v_add_f32_e32 v15, v9, v14
	v_div_scale_f32 v36, s0, v23, v17, v23
	v_fma_f32 v38, -v22, v29, v35
	v_fmac_f32_e32 v34, v33, v34
	v_div_scale_f32 v33, null, v17, v17, v21
	v_rcp_f32_e32 v37, v28
	v_fmac_f32_e32 v29, v38, v27
	v_mul_f32_e32 v14, v24, v14
	v_rcp_f32_e32 v39, v33
	v_div_scale_f32 v24, null, v32, v32, v26
	v_fma_f32 v22, -v22, v29, v35
	v_mul_f32_e32 v38, v36, v34
	v_mul_f32_e32 v19, 0x40c00000, v19
	v_mul_f32_e32 v16, 4.0, v16
	v_fma_f32 v40, -v28, v37, 1.0
	v_div_fmas_f32 v22, v22, v27, v29
	v_mul_f32_e32 v27, v13, v13
	v_rcp_f32_e32 v29, v24
	v_mul_f32_e32 v13, v10, v13
	v_fma_f32 v35, -v30, v38, v36
	v_fmac_f32_e32 v37, v40, v37
	v_fmac_f32_e32 v14, v9, v27
	v_fma_f32 v27, -v33, v39, 1.0
	s_waitcnt lgkmcnt(1)
	v_fma_f32 v1, v1, v12, -v13
	v_fmac_f32_e32 v38, v35, v34
	v_div_scale_f32 v9, s1, v20, v25, v20
	v_mul_f32_e32 v14, v19, v14
	v_fmac_f32_e32 v39, v27, v39
	v_fma_f32 v35, -v24, v29, 1.0
	v_mul_f32_e32 v1, v16, v1
	v_fma_f32 v19, -v30, v38, v36
	v_div_scale_f32 v27, null, v25, v25, v14
	v_mul_f32_e32 v30, v9, v37
	v_fmac_f32_e32 v29, v35, v29
	v_div_scale_f32 v35, null, v17, v17, v1
	v_rcp_f32_e32 v13, v27
	v_div_scale_f32 v31, s2, v21, v17, v21
	s_mov_b32 vcc_lo, s0
	v_fma_f32 v16, -v28, v30, v9
	v_div_scale_f32 v36, s0, v26, v32, v26
	v_rcp_f32_e32 v40, v35
	v_div_fmas_f32 v19, v19, v34, v38
	v_mul_f32_e32 v34, v31, v39
	v_fma_f32 v38, -v27, v13, 1.0
	v_fmac_f32_e32 v30, v16, v37
	v_mul_f32_e32 v41, v36, v29
	v_add_f32_e32 v10, v10, v12
	v_fma_f32 v16, -v33, v34, v31
	v_fmac_f32_e32 v13, v38, v13
	v_div_scale_f32 v38, s3, v14, v25, v14
	v_fma_f32 v9, -v28, v30, v9
	v_fma_f32 v12, -v24, v41, v36
	v_fma_f32 v28, -v35, v40, 1.0
	v_fmac_f32_e32 v34, v16, v39
	v_mul_f32_e32 v16, v38, v13
	s_mov_b32 vcc_lo, s1
	v_fmac_f32_e32 v41, v12, v29
	v_fmac_f32_e32 v40, v28, v40
	v_div_scale_f32 v28, s1, v1, v17, v1
	v_div_fmas_f32 v9, v9, v37, v30
	v_fma_f32 v30, -v33, v34, v31
	v_fma_f32 v12, -v27, v16, v38
	;; [unrolled: 1-line block ×3, first 2 shown]
	v_mul_f32_e32 v31, v28, v40
	s_mov_b32 vcc_lo, s2
	v_div_fixup_f32 v9, v9, v25, v20
	v_div_fmas_f32 v30, v30, v39, v34
	s_mov_b32 vcc_lo, s0
	v_fmac_f32_e32 v16, v12, v13
	v_div_fmas_f32 v12, v24, v29, v41
	v_fma_f32 v24, -v35, v31, v28
	s_waitcnt lgkmcnt(0)
	v_add_f32_e32 v8, v11, v8
	s_mov_b32 vcc_lo, s3
	v_fma_f32 v11, -v27, v16, v38
	v_div_fixup_f32 v12, v12, v32, v26
	v_fmac_f32_e32 v31, v24, v40
	v_add_f32_e32 v9, v10, v9
	v_div_fmas_f32 v11, v11, v13, v16
	s_mov_b32 vcc_lo, s1
	v_fma_f32 v10, -v35, v31, v28
	v_div_fixup_f32 v13, v19, v17, v23
	v_add_f32_e32 v8, v8, v12
	v_div_fixup_f32 v11, v11, v25, v14
	v_div_fixup_f32 v12, v30, v17, v21
	v_div_fmas_f32 v10, v10, v40, v31
	v_div_fixup_f32 v14, v22, v17, v18
	v_add_f32_e32 v13, v15, v13
	v_add_f32_e32 v8, v11, v8
	v_cmp_lt_f32_e32 vcc_lo, v3, v7
	v_div_fixup_f32 v1, v10, v17, v1
	v_add_f32_e32 v10, v12, v9
	v_add_f32_e32 v4, v4, v14
	v_mov_b32_e32 v9, v13
	v_cndmask_b32_e32 v3, v3, v7, vcc_lo
	v_add_f32_e32 v11, v1, v8
	v_mov_b32_e32 v1, v17
.LBB8_13:
	s_or_b32 exec_lo, exec_lo, s5
	v_cmp_gt_u32_e32 vcc_lo, 30, v5
	v_add_nc_u32_e32 v17, 2, v5
	s_mov_b32 s5, exec_lo
	s_waitcnt lgkmcnt(4)
	v_cndmask_b32_e64 v7, 0, 2, vcc_lo
	s_waitcnt lgkmcnt(0)
	v_add_lshl_u32 v8, v7, v5, 2
	ds_bpermute_b32 v13, v8, v1
	ds_bpermute_b32 v15, v8, v2
	;; [unrolled: 1-line block ×7, first 2 shown]
	v_cmpx_lt_u32_e64 v17, v6
	s_cbranch_execz .LBB8_15
; %bb.14:
	s_waitcnt lgkmcnt(3)
	v_sub_f32_e32 v16, v16, v4
	v_add_f32_e32 v17, v1, v13
	v_cmp_gt_f32_e32 vcc_lo, v2, v15
	v_sub_f32_e32 v20, v1, v13
	v_mul_f32_e32 v21, v9, v13
	v_mul_f32_e32 v18, v16, v13
	;; [unrolled: 1-line block ×3, first 2 shown]
	v_cndmask_b32_e32 v2, v2, v15, vcc_lo
	v_mul_f32_e32 v24, v1, v1
	v_mul_f32_e32 v28, 0x40400000, v16
	v_div_scale_f32 v22, null, v17, v17, v18
	v_mul_f32_e32 v23, v1, v19
	v_mul_f32_e32 v26, v16, v19
	v_div_scale_f32 v35, vcc_lo, v18, v17, v18
	v_rcp_f32_e32 v27, v22
	v_mul_f32_e32 v23, v23, v13
	v_mul_f32_e32 v29, v1, v26
	;; [unrolled: 1-line block ×3, first 2 shown]
	s_waitcnt lgkmcnt(2)
	v_fma_f32 v21, v1, v14, -v21
	v_fma_f32 v31, -v1, v13, v24
	v_div_scale_f32 v30, null, v17, v17, v23
	v_mul_f32_e32 v29, v29, v13
	v_mul_f32_e32 v26, v1, v26
	v_fma_f32 v33, -v22, v27, 1.0
	v_rcp_f32_e32 v34, v30
	v_mul_f32_e32 v25, v17, v17
	v_mul_f32_e32 v20, v20, v29
	;; [unrolled: 1-line block ×3, first 2 shown]
	v_fmac_f32_e32 v27, v33, v27
	v_fmac_f32_e32 v31, v13, v13
	v_mul_f32_e32 v26, v26, v13
	v_mul_f32_e32 v32, v17, v25
	v_div_scale_f32 v28, null, v25, v25, v20
	v_mul_f32_e32 v29, v35, v27
	v_fma_f32 v33, -v30, v34, 1.0
	v_mul_f32_e32 v26, v31, v26
	v_add_f32_e32 v15, v9, v14
	v_div_scale_f32 v36, s0, v23, v17, v23
	v_fma_f32 v38, -v22, v29, v35
	v_fmac_f32_e32 v34, v33, v34
	v_div_scale_f32 v33, null, v17, v17, v21
	v_rcp_f32_e32 v37, v28
	v_fmac_f32_e32 v29, v38, v27
	v_mul_f32_e32 v14, v24, v14
	v_rcp_f32_e32 v39, v33
	v_div_scale_f32 v24, null, v32, v32, v26
	v_fma_f32 v22, -v22, v29, v35
	v_mul_f32_e32 v38, v36, v34
	v_mul_f32_e32 v19, 0x40c00000, v19
	v_mul_f32_e32 v16, 4.0, v16
	v_fma_f32 v40, -v28, v37, 1.0
	v_div_fmas_f32 v22, v22, v27, v29
	v_mul_f32_e32 v27, v13, v13
	v_rcp_f32_e32 v29, v24
	v_mul_f32_e32 v13, v10, v13
	v_fma_f32 v35, -v30, v38, v36
	v_fmac_f32_e32 v37, v40, v37
	v_fmac_f32_e32 v14, v9, v27
	v_fma_f32 v27, -v33, v39, 1.0
	s_waitcnt lgkmcnt(1)
	v_fma_f32 v1, v1, v12, -v13
	v_fmac_f32_e32 v38, v35, v34
	v_div_scale_f32 v9, s1, v20, v25, v20
	v_mul_f32_e32 v14, v19, v14
	v_fmac_f32_e32 v39, v27, v39
	v_fma_f32 v35, -v24, v29, 1.0
	v_mul_f32_e32 v1, v16, v1
	v_fma_f32 v19, -v30, v38, v36
	v_div_scale_f32 v27, null, v25, v25, v14
	v_mul_f32_e32 v30, v9, v37
	v_fmac_f32_e32 v29, v35, v29
	v_div_scale_f32 v35, null, v17, v17, v1
	v_rcp_f32_e32 v13, v27
	v_div_scale_f32 v31, s2, v21, v17, v21
	s_mov_b32 vcc_lo, s0
	v_fma_f32 v16, -v28, v30, v9
	v_div_scale_f32 v36, s0, v26, v32, v26
	v_rcp_f32_e32 v40, v35
	v_div_fmas_f32 v19, v19, v34, v38
	v_mul_f32_e32 v34, v31, v39
	v_fma_f32 v38, -v27, v13, 1.0
	v_fmac_f32_e32 v30, v16, v37
	v_mul_f32_e32 v41, v36, v29
	v_add_f32_e32 v10, v10, v12
	v_fma_f32 v16, -v33, v34, v31
	v_fmac_f32_e32 v13, v38, v13
	v_div_scale_f32 v38, s3, v14, v25, v14
	v_fma_f32 v9, -v28, v30, v9
	v_fma_f32 v12, -v24, v41, v36
	v_fma_f32 v28, -v35, v40, 1.0
	v_fmac_f32_e32 v34, v16, v39
	v_mul_f32_e32 v16, v38, v13
	s_mov_b32 vcc_lo, s1
	v_fmac_f32_e32 v41, v12, v29
	v_fmac_f32_e32 v40, v28, v40
	v_div_scale_f32 v28, s1, v1, v17, v1
	v_div_fmas_f32 v9, v9, v37, v30
	v_fma_f32 v30, -v33, v34, v31
	v_fma_f32 v12, -v27, v16, v38
	;; [unrolled: 1-line block ×3, first 2 shown]
	v_mul_f32_e32 v31, v28, v40
	s_mov_b32 vcc_lo, s2
	v_div_fixup_f32 v9, v9, v25, v20
	v_div_fmas_f32 v30, v30, v39, v34
	s_mov_b32 vcc_lo, s0
	v_fmac_f32_e32 v16, v12, v13
	v_div_fmas_f32 v12, v24, v29, v41
	v_fma_f32 v24, -v35, v31, v28
	s_waitcnt lgkmcnt(0)
	v_add_f32_e32 v8, v11, v8
	s_mov_b32 vcc_lo, s3
	v_fma_f32 v11, -v27, v16, v38
	v_div_fixup_f32 v12, v12, v32, v26
	v_fmac_f32_e32 v31, v24, v40
	v_add_f32_e32 v9, v10, v9
	v_div_fmas_f32 v11, v11, v13, v16
	s_mov_b32 vcc_lo, s1
	v_fma_f32 v10, -v35, v31, v28
	v_div_fixup_f32 v13, v19, v17, v23
	v_add_f32_e32 v8, v8, v12
	v_div_fixup_f32 v11, v11, v25, v14
	v_div_fixup_f32 v12, v30, v17, v21
	v_div_fmas_f32 v10, v10, v40, v31
	v_div_fixup_f32 v14, v22, v17, v18
	v_add_f32_e32 v13, v15, v13
	v_add_f32_e32 v8, v11, v8
	v_cmp_lt_f32_e32 vcc_lo, v3, v7
	v_div_fixup_f32 v1, v10, v17, v1
	v_add_f32_e32 v10, v12, v9
	v_add_f32_e32 v4, v4, v14
	v_mov_b32_e32 v9, v13
	v_cndmask_b32_e32 v3, v3, v7, vcc_lo
	v_add_f32_e32 v11, v1, v8
	v_mov_b32_e32 v1, v17
.LBB8_15:
	s_or_b32 exec_lo, exec_lo, s5
	v_cmp_gt_u32_e32 vcc_lo, 28, v5
	v_add_nc_u32_e32 v17, 4, v5
	s_mov_b32 s5, exec_lo
	s_waitcnt lgkmcnt(4)
	v_cndmask_b32_e64 v7, 0, 4, vcc_lo
	s_waitcnt lgkmcnt(0)
	v_add_lshl_u32 v8, v7, v5, 2
	ds_bpermute_b32 v13, v8, v1
	ds_bpermute_b32 v15, v8, v2
	;; [unrolled: 1-line block ×7, first 2 shown]
	v_cmpx_lt_u32_e64 v17, v6
	s_cbranch_execz .LBB8_17
; %bb.16:
	s_waitcnt lgkmcnt(3)
	v_sub_f32_e32 v16, v16, v4
	v_add_f32_e32 v17, v1, v13
	v_cmp_gt_f32_e32 vcc_lo, v2, v15
	v_sub_f32_e32 v20, v1, v13
	v_mul_f32_e32 v21, v9, v13
	v_mul_f32_e32 v18, v16, v13
	;; [unrolled: 1-line block ×3, first 2 shown]
	v_cndmask_b32_e32 v2, v2, v15, vcc_lo
	v_mul_f32_e32 v24, v1, v1
	v_mul_f32_e32 v28, 0x40400000, v16
	v_div_scale_f32 v22, null, v17, v17, v18
	v_mul_f32_e32 v23, v1, v19
	v_mul_f32_e32 v26, v16, v19
	v_div_scale_f32 v35, vcc_lo, v18, v17, v18
	v_rcp_f32_e32 v27, v22
	v_mul_f32_e32 v23, v23, v13
	v_mul_f32_e32 v29, v1, v26
	;; [unrolled: 1-line block ×3, first 2 shown]
	s_waitcnt lgkmcnt(2)
	v_fma_f32 v21, v1, v14, -v21
	v_fma_f32 v31, -v1, v13, v24
	v_div_scale_f32 v30, null, v17, v17, v23
	v_mul_f32_e32 v29, v29, v13
	v_mul_f32_e32 v26, v1, v26
	v_fma_f32 v33, -v22, v27, 1.0
	v_rcp_f32_e32 v34, v30
	v_mul_f32_e32 v25, v17, v17
	v_mul_f32_e32 v20, v20, v29
	;; [unrolled: 1-line block ×3, first 2 shown]
	v_fmac_f32_e32 v27, v33, v27
	v_fmac_f32_e32 v31, v13, v13
	v_mul_f32_e32 v26, v26, v13
	v_mul_f32_e32 v32, v17, v25
	v_div_scale_f32 v28, null, v25, v25, v20
	v_mul_f32_e32 v29, v35, v27
	v_fma_f32 v33, -v30, v34, 1.0
	v_mul_f32_e32 v26, v31, v26
	v_add_f32_e32 v15, v9, v14
	v_div_scale_f32 v36, s0, v23, v17, v23
	v_fma_f32 v38, -v22, v29, v35
	v_fmac_f32_e32 v34, v33, v34
	v_div_scale_f32 v33, null, v17, v17, v21
	v_rcp_f32_e32 v37, v28
	v_fmac_f32_e32 v29, v38, v27
	v_mul_f32_e32 v14, v24, v14
	v_rcp_f32_e32 v39, v33
	v_div_scale_f32 v24, null, v32, v32, v26
	v_fma_f32 v22, -v22, v29, v35
	v_mul_f32_e32 v38, v36, v34
	v_mul_f32_e32 v19, 0x40c00000, v19
	v_mul_f32_e32 v16, 4.0, v16
	v_fma_f32 v40, -v28, v37, 1.0
	v_div_fmas_f32 v22, v22, v27, v29
	v_mul_f32_e32 v27, v13, v13
	v_rcp_f32_e32 v29, v24
	v_mul_f32_e32 v13, v10, v13
	v_fma_f32 v35, -v30, v38, v36
	v_fmac_f32_e32 v37, v40, v37
	v_fmac_f32_e32 v14, v9, v27
	v_fma_f32 v27, -v33, v39, 1.0
	s_waitcnt lgkmcnt(1)
	v_fma_f32 v1, v1, v12, -v13
	v_fmac_f32_e32 v38, v35, v34
	v_div_scale_f32 v9, s1, v20, v25, v20
	v_mul_f32_e32 v14, v19, v14
	v_fmac_f32_e32 v39, v27, v39
	v_fma_f32 v35, -v24, v29, 1.0
	v_mul_f32_e32 v1, v16, v1
	v_fma_f32 v19, -v30, v38, v36
	v_div_scale_f32 v27, null, v25, v25, v14
	v_mul_f32_e32 v30, v9, v37
	v_fmac_f32_e32 v29, v35, v29
	v_div_scale_f32 v35, null, v17, v17, v1
	v_rcp_f32_e32 v13, v27
	v_div_scale_f32 v31, s2, v21, v17, v21
	s_mov_b32 vcc_lo, s0
	v_fma_f32 v16, -v28, v30, v9
	v_div_scale_f32 v36, s0, v26, v32, v26
	v_rcp_f32_e32 v40, v35
	v_div_fmas_f32 v19, v19, v34, v38
	v_mul_f32_e32 v34, v31, v39
	v_fma_f32 v38, -v27, v13, 1.0
	v_fmac_f32_e32 v30, v16, v37
	v_mul_f32_e32 v41, v36, v29
	v_add_f32_e32 v10, v10, v12
	v_fma_f32 v16, -v33, v34, v31
	v_fmac_f32_e32 v13, v38, v13
	v_div_scale_f32 v38, s3, v14, v25, v14
	v_fma_f32 v9, -v28, v30, v9
	v_fma_f32 v12, -v24, v41, v36
	v_fma_f32 v28, -v35, v40, 1.0
	v_fmac_f32_e32 v34, v16, v39
	v_mul_f32_e32 v16, v38, v13
	s_mov_b32 vcc_lo, s1
	v_fmac_f32_e32 v41, v12, v29
	v_fmac_f32_e32 v40, v28, v40
	v_div_scale_f32 v28, s1, v1, v17, v1
	v_div_fmas_f32 v9, v9, v37, v30
	v_fma_f32 v30, -v33, v34, v31
	v_fma_f32 v12, -v27, v16, v38
	;; [unrolled: 1-line block ×3, first 2 shown]
	v_mul_f32_e32 v31, v28, v40
	s_mov_b32 vcc_lo, s2
	v_div_fixup_f32 v9, v9, v25, v20
	v_div_fmas_f32 v30, v30, v39, v34
	s_mov_b32 vcc_lo, s0
	v_fmac_f32_e32 v16, v12, v13
	v_div_fmas_f32 v12, v24, v29, v41
	v_fma_f32 v24, -v35, v31, v28
	s_waitcnt lgkmcnt(0)
	v_add_f32_e32 v8, v11, v8
	s_mov_b32 vcc_lo, s3
	v_fma_f32 v11, -v27, v16, v38
	v_div_fixup_f32 v12, v12, v32, v26
	v_fmac_f32_e32 v31, v24, v40
	v_add_f32_e32 v9, v10, v9
	v_div_fmas_f32 v11, v11, v13, v16
	s_mov_b32 vcc_lo, s1
	v_fma_f32 v10, -v35, v31, v28
	v_div_fixup_f32 v13, v19, v17, v23
	v_add_f32_e32 v8, v8, v12
	v_div_fixup_f32 v11, v11, v25, v14
	v_div_fixup_f32 v12, v30, v17, v21
	v_div_fmas_f32 v10, v10, v40, v31
	v_div_fixup_f32 v14, v22, v17, v18
	v_add_f32_e32 v13, v15, v13
	v_add_f32_e32 v8, v11, v8
	v_cmp_lt_f32_e32 vcc_lo, v3, v7
	v_div_fixup_f32 v1, v10, v17, v1
	v_add_f32_e32 v10, v12, v9
	v_add_f32_e32 v4, v4, v14
	v_mov_b32_e32 v9, v13
	v_cndmask_b32_e32 v3, v3, v7, vcc_lo
	v_add_f32_e32 v11, v1, v8
	v_mov_b32_e32 v1, v17
.LBB8_17:
	s_or_b32 exec_lo, exec_lo, s5
	v_cmp_gt_u32_e32 vcc_lo, 24, v5
	v_add_nc_u32_e32 v17, 8, v5
	s_mov_b32 s5, exec_lo
	s_waitcnt lgkmcnt(4)
	v_cndmask_b32_e64 v7, 0, 8, vcc_lo
	s_waitcnt lgkmcnt(0)
	v_add_lshl_u32 v8, v7, v5, 2
	ds_bpermute_b32 v13, v8, v1
	ds_bpermute_b32 v15, v8, v2
	;; [unrolled: 1-line block ×7, first 2 shown]
	v_cmpx_lt_u32_e64 v17, v6
	s_cbranch_execz .LBB8_19
; %bb.18:
	s_waitcnt lgkmcnt(3)
	v_sub_f32_e32 v16, v16, v4
	v_add_f32_e32 v17, v1, v13
	v_cmp_gt_f32_e32 vcc_lo, v2, v15
	v_sub_f32_e32 v20, v1, v13
	v_mul_f32_e32 v21, v9, v13
	v_mul_f32_e32 v18, v16, v13
	;; [unrolled: 1-line block ×3, first 2 shown]
	v_cndmask_b32_e32 v2, v2, v15, vcc_lo
	v_mul_f32_e32 v24, v1, v1
	v_mul_f32_e32 v28, 0x40400000, v16
	v_div_scale_f32 v22, null, v17, v17, v18
	v_mul_f32_e32 v23, v1, v19
	v_mul_f32_e32 v26, v16, v19
	v_div_scale_f32 v35, vcc_lo, v18, v17, v18
	v_rcp_f32_e32 v27, v22
	v_mul_f32_e32 v23, v23, v13
	v_mul_f32_e32 v29, v1, v26
	v_mul_f32_e32 v26, v16, v26
	s_waitcnt lgkmcnt(2)
	v_fma_f32 v21, v1, v14, -v21
	v_fma_f32 v31, -v1, v13, v24
	v_div_scale_f32 v30, null, v17, v17, v23
	v_mul_f32_e32 v29, v29, v13
	v_mul_f32_e32 v26, v1, v26
	v_fma_f32 v33, -v22, v27, 1.0
	v_rcp_f32_e32 v34, v30
	v_mul_f32_e32 v25, v17, v17
	v_mul_f32_e32 v20, v20, v29
	;; [unrolled: 1-line block ×3, first 2 shown]
	v_fmac_f32_e32 v27, v33, v27
	v_fmac_f32_e32 v31, v13, v13
	v_mul_f32_e32 v26, v26, v13
	v_mul_f32_e32 v32, v17, v25
	v_div_scale_f32 v28, null, v25, v25, v20
	v_mul_f32_e32 v29, v35, v27
	v_fma_f32 v33, -v30, v34, 1.0
	v_mul_f32_e32 v26, v31, v26
	v_add_f32_e32 v15, v9, v14
	v_div_scale_f32 v36, s0, v23, v17, v23
	v_fma_f32 v38, -v22, v29, v35
	v_fmac_f32_e32 v34, v33, v34
	v_div_scale_f32 v33, null, v17, v17, v21
	v_rcp_f32_e32 v37, v28
	v_fmac_f32_e32 v29, v38, v27
	v_mul_f32_e32 v14, v24, v14
	v_rcp_f32_e32 v39, v33
	v_div_scale_f32 v24, null, v32, v32, v26
	v_fma_f32 v22, -v22, v29, v35
	v_mul_f32_e32 v38, v36, v34
	v_mul_f32_e32 v19, 0x40c00000, v19
	v_mul_f32_e32 v16, 4.0, v16
	v_fma_f32 v40, -v28, v37, 1.0
	v_div_fmas_f32 v22, v22, v27, v29
	v_mul_f32_e32 v27, v13, v13
	v_rcp_f32_e32 v29, v24
	v_mul_f32_e32 v13, v10, v13
	v_fma_f32 v35, -v30, v38, v36
	v_fmac_f32_e32 v37, v40, v37
	v_fmac_f32_e32 v14, v9, v27
	v_fma_f32 v27, -v33, v39, 1.0
	s_waitcnt lgkmcnt(1)
	v_fma_f32 v1, v1, v12, -v13
	v_fmac_f32_e32 v38, v35, v34
	v_div_scale_f32 v9, s1, v20, v25, v20
	v_mul_f32_e32 v14, v19, v14
	v_fmac_f32_e32 v39, v27, v39
	v_fma_f32 v35, -v24, v29, 1.0
	v_mul_f32_e32 v1, v16, v1
	v_fma_f32 v19, -v30, v38, v36
	v_div_scale_f32 v27, null, v25, v25, v14
	v_mul_f32_e32 v30, v9, v37
	v_fmac_f32_e32 v29, v35, v29
	v_div_scale_f32 v35, null, v17, v17, v1
	v_rcp_f32_e32 v13, v27
	v_div_scale_f32 v31, s2, v21, v17, v21
	s_mov_b32 vcc_lo, s0
	v_fma_f32 v16, -v28, v30, v9
	v_div_scale_f32 v36, s0, v26, v32, v26
	v_rcp_f32_e32 v40, v35
	v_div_fmas_f32 v19, v19, v34, v38
	v_mul_f32_e32 v34, v31, v39
	v_fma_f32 v38, -v27, v13, 1.0
	v_fmac_f32_e32 v30, v16, v37
	v_mul_f32_e32 v41, v36, v29
	v_add_f32_e32 v10, v10, v12
	v_fma_f32 v16, -v33, v34, v31
	v_fmac_f32_e32 v13, v38, v13
	v_div_scale_f32 v38, s3, v14, v25, v14
	v_fma_f32 v9, -v28, v30, v9
	v_fma_f32 v12, -v24, v41, v36
	v_fma_f32 v28, -v35, v40, 1.0
	v_fmac_f32_e32 v34, v16, v39
	v_mul_f32_e32 v16, v38, v13
	s_mov_b32 vcc_lo, s1
	v_fmac_f32_e32 v41, v12, v29
	v_fmac_f32_e32 v40, v28, v40
	v_div_scale_f32 v28, s1, v1, v17, v1
	v_div_fmas_f32 v9, v9, v37, v30
	v_fma_f32 v30, -v33, v34, v31
	v_fma_f32 v12, -v27, v16, v38
	;; [unrolled: 1-line block ×3, first 2 shown]
	v_mul_f32_e32 v31, v28, v40
	s_mov_b32 vcc_lo, s2
	v_div_fixup_f32 v9, v9, v25, v20
	v_div_fmas_f32 v30, v30, v39, v34
	s_mov_b32 vcc_lo, s0
	v_fmac_f32_e32 v16, v12, v13
	v_div_fmas_f32 v12, v24, v29, v41
	v_fma_f32 v24, -v35, v31, v28
	s_waitcnt lgkmcnt(0)
	v_add_f32_e32 v8, v11, v8
	s_mov_b32 vcc_lo, s3
	v_fma_f32 v11, -v27, v16, v38
	v_div_fixup_f32 v12, v12, v32, v26
	v_fmac_f32_e32 v31, v24, v40
	v_add_f32_e32 v9, v10, v9
	v_div_fmas_f32 v11, v11, v13, v16
	s_mov_b32 vcc_lo, s1
	v_fma_f32 v10, -v35, v31, v28
	v_div_fixup_f32 v13, v19, v17, v23
	v_add_f32_e32 v8, v8, v12
	v_div_fixup_f32 v11, v11, v25, v14
	v_div_fixup_f32 v12, v30, v17, v21
	v_div_fmas_f32 v10, v10, v40, v31
	v_div_fixup_f32 v14, v22, v17, v18
	v_add_f32_e32 v13, v15, v13
	v_add_f32_e32 v8, v11, v8
	v_cmp_lt_f32_e32 vcc_lo, v3, v7
	v_div_fixup_f32 v1, v10, v17, v1
	v_add_f32_e32 v10, v12, v9
	v_add_f32_e32 v4, v4, v14
	v_mov_b32_e32 v9, v13
	v_cndmask_b32_e32 v3, v3, v7, vcc_lo
	v_add_f32_e32 v11, v1, v8
	v_mov_b32_e32 v1, v17
.LBB8_19:
	s_or_b32 exec_lo, exec_lo, s5
	s_waitcnt lgkmcnt(4)
	v_lshlrev_b32_e32 v7, 2, v5
	v_add_nc_u32_e32 v18, 16, v5
	s_mov_b32 s5, exec_lo
	s_waitcnt lgkmcnt(1)
	v_or_b32_e32 v12, 64, v7
	ds_bpermute_b32 v14, v12, v1
	ds_bpermute_b32 v16, v12, v2
	s_waitcnt lgkmcnt(2)
	ds_bpermute_b32 v8, v12, v3
	ds_bpermute_b32 v17, v12, v4
	ds_bpermute_b32 v15, v12, v9
	ds_bpermute_b32 v13, v12, v10
	ds_bpermute_b32 v12, v12, v11
	v_cmpx_lt_u32_e64 v18, v6
	s_cbranch_execz .LBB8_21
; %bb.20:
	s_waitcnt lgkmcnt(3)
	v_sub_f32_e32 v6, v17, v4
	v_add_f32_e32 v17, v1, v14
	v_cmp_gt_f32_e32 vcc_lo, v2, v16
	v_sub_f32_e32 v20, v1, v14
	v_mul_f32_e32 v21, v9, v14
	v_mul_f32_e32 v18, v6, v14
	;; [unrolled: 1-line block ×3, first 2 shown]
	v_cndmask_b32_e32 v2, v2, v16, vcc_lo
	v_mul_f32_e32 v24, v1, v1
	v_mul_f32_e32 v28, 0x40400000, v6
	v_div_scale_f32 v22, null, v17, v17, v18
	v_mul_f32_e32 v23, v1, v19
	v_mul_f32_e32 v26, v6, v19
	v_div_scale_f32 v35, vcc_lo, v18, v17, v18
	v_rcp_f32_e32 v27, v22
	v_mul_f32_e32 v23, v23, v14
	v_mul_f32_e32 v29, v1, v26
	;; [unrolled: 1-line block ×3, first 2 shown]
	s_waitcnt lgkmcnt(2)
	v_fma_f32 v21, v1, v15, -v21
	v_fma_f32 v31, -v1, v14, v24
	v_div_scale_f32 v30, null, v17, v17, v23
	v_mul_f32_e32 v29, v29, v14
	v_mul_f32_e32 v26, v1, v26
	v_fma_f32 v33, -v22, v27, 1.0
	v_rcp_f32_e32 v34, v30
	v_mul_f32_e32 v25, v17, v17
	v_mul_f32_e32 v20, v20, v29
	;; [unrolled: 1-line block ×3, first 2 shown]
	v_fmac_f32_e32 v27, v33, v27
	v_fmac_f32_e32 v31, v14, v14
	v_mul_f32_e32 v26, v26, v14
	v_mul_f32_e32 v32, v17, v25
	v_div_scale_f32 v28, null, v25, v25, v20
	v_mul_f32_e32 v29, v35, v27
	v_fma_f32 v33, -v30, v34, 1.0
	v_mul_f32_e32 v26, v31, v26
	v_add_f32_e32 v16, v9, v15
	v_div_scale_f32 v36, s0, v23, v17, v23
	v_fma_f32 v38, -v22, v29, v35
	v_fmac_f32_e32 v34, v33, v34
	v_div_scale_f32 v33, null, v17, v17, v21
	v_rcp_f32_e32 v37, v28
	v_fmac_f32_e32 v29, v38, v27
	v_mul_f32_e32 v15, v24, v15
	v_rcp_f32_e32 v39, v33
	v_div_scale_f32 v24, null, v32, v32, v26
	v_fma_f32 v22, -v22, v29, v35
	v_mul_f32_e32 v38, v36, v34
	v_mul_f32_e32 v19, 0x40c00000, v19
	v_mul_f32_e32 v6, 4.0, v6
	v_fma_f32 v40, -v28, v37, 1.0
	v_div_fmas_f32 v22, v22, v27, v29
	v_mul_f32_e32 v27, v14, v14
	v_rcp_f32_e32 v29, v24
	v_mul_f32_e32 v14, v10, v14
	v_fma_f32 v35, -v30, v38, v36
	v_fmac_f32_e32 v37, v40, v37
	v_fmac_f32_e32 v15, v9, v27
	v_fma_f32 v27, -v33, v39, 1.0
	s_waitcnt lgkmcnt(1)
	v_fma_f32 v1, v1, v13, -v14
	v_fmac_f32_e32 v38, v35, v34
	v_div_scale_f32 v9, s1, v20, v25, v20
	v_mul_f32_e32 v15, v19, v15
	v_fmac_f32_e32 v39, v27, v39
	v_fma_f32 v35, -v24, v29, 1.0
	v_mul_f32_e32 v1, v6, v1
	v_fma_f32 v19, -v30, v38, v36
	v_div_scale_f32 v27, null, v25, v25, v15
	v_mul_f32_e32 v30, v9, v37
	v_div_scale_f32 v31, s2, v21, v17, v21
	v_rcp_f32_e32 v14, v27
	v_fmac_f32_e32 v29, v35, v29
	v_div_scale_f32 v35, null, v17, v17, v1
	s_mov_b32 vcc_lo, s0
	v_fma_f32 v6, -v28, v30, v9
	v_div_fmas_f32 v19, v19, v34, v38
	v_mul_f32_e32 v34, v31, v39
	v_div_scale_f32 v36, s0, v26, v32, v26
	v_rcp_f32_e32 v40, v35
	v_fma_f32 v38, -v27, v14, 1.0
	v_fmac_f32_e32 v30, v6, v37
	v_fma_f32 v6, -v33, v34, v31
	v_mul_f32_e32 v41, v36, v29
	v_add_f32_e32 v10, v10, v13
	v_fmac_f32_e32 v14, v38, v14
	v_div_scale_f32 v38, s3, v15, v25, v15
	v_fma_f32 v9, -v28, v30, v9
	v_fmac_f32_e32 v34, v6, v39
	v_fma_f32 v6, -v24, v41, v36
	v_fma_f32 v28, -v35, v40, 1.0
	v_mul_f32_e32 v13, v38, v14
	s_mov_b32 vcc_lo, s1
	s_waitcnt lgkmcnt(0)
	v_add_f32_e32 v11, v11, v12
	v_fmac_f32_e32 v41, v6, v29
	v_fmac_f32_e32 v40, v28, v40
	v_div_scale_f32 v28, s1, v1, v17, v1
	v_div_fmas_f32 v9, v9, v37, v30
	v_fma_f32 v30, -v33, v34, v31
	v_fma_f32 v6, -v27, v13, v38
	;; [unrolled: 1-line block ×3, first 2 shown]
	v_mul_f32_e32 v31, v28, v40
	s_mov_b32 vcc_lo, s2
	v_div_fixup_f32 v9, v9, v25, v20
	v_div_fmas_f32 v30, v30, v39, v34
	s_mov_b32 vcc_lo, s0
	v_fmac_f32_e32 v13, v6, v14
	v_div_fmas_f32 v6, v24, v29, v41
	v_fma_f32 v24, -v35, v31, v28
	s_mov_b32 vcc_lo, s3
	v_add_f32_e32 v9, v10, v9
	v_fma_f32 v12, -v27, v13, v38
	v_div_fixup_f32 v6, v6, v32, v26
	v_fmac_f32_e32 v31, v24, v40
	v_div_fmas_f32 v12, v12, v14, v13
	s_mov_b32 vcc_lo, s1
	v_fma_f32 v10, -v35, v31, v28
	v_div_fixup_f32 v13, v19, v17, v23
	v_add_f32_e32 v6, v11, v6
	v_div_fixup_f32 v11, v12, v25, v15
	v_div_fixup_f32 v12, v30, v17, v21
	v_div_fmas_f32 v10, v10, v40, v31
	v_div_fixup_f32 v14, v22, v17, v18
	v_add_f32_e32 v13, v16, v13
	v_add_f32_e32 v6, v11, v6
	v_cmp_lt_f32_e32 vcc_lo, v3, v8
	v_div_fixup_f32 v1, v10, v17, v1
	v_add_f32_e32 v10, v12, v9
	v_add_f32_e32 v4, v4, v14
	v_mov_b32_e32 v9, v13
	v_cndmask_b32_e32 v3, v3, v8, vcc_lo
	v_add_f32_e32 v11, v1, v6
	v_mov_b32_e32 v1, v17
.LBB8_21:
	s_or_b32 exec_lo, exec_lo, s5
	s_mov_b32 s0, exec_lo
	v_cmpx_eq_u32_e32 0, v5
	s_cbranch_execz .LBB8_23
; %bb.22:
	v_lshrrev_b32_e32 v6, 5, v0
	v_mul_u32_u24_e32 v6, 28, v6
	ds_write2_b32 v6, v1, v2 offset1:1
	ds_write2_b32 v6, v3, v4 offset0:2 offset1:3
	ds_write2_b32 v6, v9, v10 offset0:4 offset1:5
	ds_write_b32 v6, v11 offset:24
.LBB8_23:
	s_or_b32 exec_lo, exec_lo, s0
	s_mov_b32 s5, exec_lo
	s_waitcnt lgkmcnt(0)
	s_barrier
	buffer_gl0_inv
	v_cmpx_gt_u32_e32 8, v0
	s_cbranch_execz .LBB8_31
; %bb.24:
	v_mul_u32_u24_e32 v8, 28, v5
	v_and_b32_e32 v6, 7, v5
	s_add_i32 s4, s4, 31
	ds_read2_b32 v[1:2], v8 offset1:1
	ds_read2_b32 v[3:4], v8 offset0:2 offset1:3
	ds_read2_b32 v[9:10], v8 offset0:4 offset1:5
	ds_read_b32 v11, v8 offset:24
	v_cmp_ne_u32_e32 vcc_lo, 7, v6
	s_lshr_b32 s4, s4, 5
	v_add_co_ci_u32_e64 v8, null, 0, v5, vcc_lo
	v_lshlrev_b32_e32 v8, 2, v8
	s_waitcnt lgkmcnt(3)
	ds_bpermute_b32 v15, v8, v1
	ds_bpermute_b32 v19, v8, v2
	s_waitcnt lgkmcnt(4)
	ds_bpermute_b32 v12, v8, v3
	ds_bpermute_b32 v20, v8, v4
	;; [unrolled: 3-line block ×3, first 2 shown]
	s_waitcnt lgkmcnt(6)
	ds_bpermute_b32 v13, v8, v11
	v_add_nc_u32_e32 v8, 1, v6
	v_mov_b32_e32 v18, v10
	v_mov_b32_e32 v17, v9
	v_cmp_gt_u32_e32 vcc_lo, s4, v8
	v_mov_b32_e32 v8, v1
	s_and_saveexec_b32 s7, vcc_lo
	s_cbranch_execz .LBB8_26
; %bb.25:
	s_waitcnt lgkmcnt(3)
	v_sub_f32_e32 v17, v20, v4
	v_cmp_gt_f32_e32 vcc_lo, v2, v19
	v_add_f32_e32 v8, v1, v15
	v_sub_f32_e32 v21, v1, v15
	v_mul_f32_e32 v22, v9, v15
	v_mul_f32_e32 v20, v17, v17
	v_cndmask_b32_e32 v2, v2, v19, vcc_lo
	v_mul_f32_e32 v19, v17, v15
	v_mul_f32_e32 v25, v1, v1
	;; [unrolled: 1-line block ×5, first 2 shown]
	v_div_scale_f32 v23, null, v8, v8, v19
	v_div_scale_f32 v36, vcc_lo, v19, v8, v19
	v_mul_f32_e32 v24, v24, v15
	v_rcp_f32_e32 v28, v23
	v_mul_f32_e32 v30, v1, v27
	v_mul_f32_e32 v27, v17, v27
	s_waitcnt lgkmcnt(2)
	v_fma_f32 v22, v1, v16, -v22
	v_div_scale_f32 v31, null, v8, v8, v24
	v_mul_f32_e32 v30, v30, v15
	v_fma_f32 v32, -v1, v15, v25
	v_mul_f32_e32 v27, v1, v27
	v_rcp_f32_e32 v35, v31
	v_fma_f32 v34, -v23, v28, 1.0
	v_mul_f32_e32 v21, v21, v30
	v_mul_f32_e32 v26, v8, v8
	;; [unrolled: 1-line block ×3, first 2 shown]
	v_fmac_f32_e32 v32, v15, v15
	v_fmac_f32_e32 v28, v34, v28
	v_mul_f32_e32 v27, v27, v15
	v_mul_f32_e32 v33, v8, v26
	v_div_scale_f32 v29, null, v26, v26, v21
	v_mul_f32_e32 v30, v36, v28
	v_fma_f32 v34, -v31, v35, 1.0
	v_mul_f32_e32 v27, v32, v27
	v_add_f32_e32 v18, v9, v16
	v_div_scale_f32 v37, s0, v24, v8, v24
	v_fma_f32 v39, -v23, v30, v36
	v_fmac_f32_e32 v35, v34, v35
	v_div_scale_f32 v34, null, v8, v8, v22
	v_rcp_f32_e32 v38, v29
	v_fmac_f32_e32 v30, v39, v28
	v_mul_f32_e32 v16, v25, v16
	v_rcp_f32_e32 v40, v34
	v_div_scale_f32 v25, null, v33, v33, v27
	v_fma_f32 v23, -v23, v30, v36
	v_mul_f32_e32 v39, v37, v35
	v_mul_f32_e32 v20, 0x40c00000, v20
	v_mul_f32_e32 v17, 4.0, v17
	v_fma_f32 v41, -v29, v38, 1.0
	v_div_fmas_f32 v23, v23, v28, v30
	v_mul_f32_e32 v28, v15, v15
	v_rcp_f32_e32 v30, v25
	v_mul_f32_e32 v15, v10, v15
	v_fma_f32 v36, -v31, v39, v37
	v_fmac_f32_e32 v38, v41, v38
	v_fmac_f32_e32 v16, v9, v28
	v_fma_f32 v28, -v34, v40, 1.0
	s_waitcnt lgkmcnt(1)
	v_fma_f32 v1, v1, v14, -v15
	v_fmac_f32_e32 v39, v36, v35
	v_div_scale_f32 v9, s1, v21, v26, v21
	v_mul_f32_e32 v16, v20, v16
	v_fmac_f32_e32 v40, v28, v40
	v_fma_f32 v36, -v25, v30, 1.0
	v_mul_f32_e32 v1, v17, v1
	v_fma_f32 v20, -v31, v39, v37
	v_div_scale_f32 v28, null, v26, v26, v16
	v_mul_f32_e32 v31, v9, v38
	v_fmac_f32_e32 v30, v36, v30
	v_div_scale_f32 v36, null, v8, v8, v1
	v_rcp_f32_e32 v15, v28
	v_div_scale_f32 v32, s2, v22, v8, v22
	s_mov_b32 vcc_lo, s0
	v_fma_f32 v17, -v29, v31, v9
	v_div_scale_f32 v37, s0, v27, v33, v27
	v_rcp_f32_e32 v41, v36
	v_div_fmas_f32 v20, v20, v35, v39
	v_mul_f32_e32 v35, v32, v40
	v_fma_f32 v39, -v28, v15, 1.0
	v_fmac_f32_e32 v31, v17, v38
	v_mul_f32_e32 v42, v37, v30
	v_add_f32_e32 v10, v10, v14
	v_fma_f32 v17, -v34, v35, v32
	v_fmac_f32_e32 v15, v39, v15
	v_div_scale_f32 v39, s3, v16, v26, v16
	v_fma_f32 v9, -v29, v31, v9
	v_fma_f32 v14, -v25, v42, v37
	v_fma_f32 v29, -v36, v41, 1.0
	v_fmac_f32_e32 v35, v17, v40
	v_mul_f32_e32 v17, v39, v15
	s_mov_b32 vcc_lo, s1
	v_fmac_f32_e32 v42, v14, v30
	v_fmac_f32_e32 v41, v29, v41
	v_div_scale_f32 v29, s1, v1, v8, v1
	v_div_fmas_f32 v9, v9, v38, v31
	v_fma_f32 v31, -v34, v35, v32
	v_fma_f32 v14, -v28, v17, v39
	;; [unrolled: 1-line block ×3, first 2 shown]
	v_mul_f32_e32 v32, v29, v41
	s_mov_b32 vcc_lo, s2
	v_div_fixup_f32 v9, v9, v26, v21
	v_div_fmas_f32 v31, v31, v40, v35
	s_mov_b32 vcc_lo, s0
	v_fmac_f32_e32 v17, v14, v15
	v_div_fmas_f32 v14, v25, v30, v42
	v_fma_f32 v25, -v36, v32, v29
	s_waitcnt lgkmcnt(0)
	v_add_f32_e32 v11, v11, v13
	s_mov_b32 vcc_lo, s3
	v_fma_f32 v13, -v28, v17, v39
	v_div_fixup_f32 v14, v14, v33, v27
	v_fmac_f32_e32 v32, v25, v41
	v_add_f32_e32 v9, v10, v9
	v_div_fmas_f32 v13, v13, v15, v17
	s_mov_b32 vcc_lo, s1
	v_fma_f32 v10, -v36, v32, v29
	v_div_fixup_f32 v15, v20, v8, v24
	v_add_f32_e32 v11, v11, v14
	v_div_fixup_f32 v13, v13, v26, v16
	v_div_fixup_f32 v14, v31, v8, v22
	v_div_fmas_f32 v10, v10, v41, v32
	v_div_fixup_f32 v16, v23, v8, v19
	v_add_f32_e32 v17, v18, v15
	v_add_f32_e32 v11, v13, v11
	;; [unrolled: 1-line block ×3, first 2 shown]
	v_div_fixup_f32 v1, v10, v8, v1
	v_cmp_lt_f32_e32 vcc_lo, v3, v12
	v_add_f32_e32 v4, v4, v16
	v_mov_b32_e32 v9, v17
	v_mov_b32_e32 v10, v18
	v_add_f32_e32 v11, v1, v11
	v_cndmask_b32_e32 v3, v3, v12, vcc_lo
	v_mov_b32_e32 v1, v8
.LBB8_26:
	s_or_b32 exec_lo, exec_lo, s7
	v_cmp_gt_u32_e32 vcc_lo, 6, v6
	s_waitcnt lgkmcnt(3)
	v_add_nc_u32_e32 v20, 2, v6
	s_mov_b32 s7, exec_lo
	v_cndmask_b32_e64 v12, 0, 2, vcc_lo
	v_add_lshl_u32 v12, v12, v5, 2
	s_waitcnt lgkmcnt(1)
	ds_bpermute_b32 v14, v12, v8
	ds_bpermute_b32 v16, v12, v2
	;; [unrolled: 1-line block ×5, first 2 shown]
	s_waitcnt lgkmcnt(5)
	ds_bpermute_b32 v13, v12, v18
	ds_bpermute_b32 v12, v12, v11
	v_cmpx_gt_u32_e64 s4, v20
	s_cbranch_execz .LBB8_28
; %bb.27:
	s_waitcnt lgkmcnt(3)
	v_sub_f32_e32 v17, v19, v4
	v_add_f32_e32 v8, v1, v14
	v_cmp_gt_f32_e32 vcc_lo, v2, v16
	v_sub_f32_e32 v20, v1, v14
	v_mul_f32_e32 v21, v9, v14
	v_mul_f32_e32 v18, v17, v14
	v_mul_f32_e32 v19, v17, v17
	v_cndmask_b32_e32 v2, v2, v16, vcc_lo
	v_mul_f32_e32 v24, v1, v1
	v_mul_f32_e32 v28, 0x40400000, v17
	v_div_scale_f32 v22, null, v8, v8, v18
	v_mul_f32_e32 v23, v1, v19
	v_mul_f32_e32 v26, v17, v19
	v_div_scale_f32 v35, vcc_lo, v18, v8, v18
	v_rcp_f32_e32 v27, v22
	v_mul_f32_e32 v23, v23, v14
	v_mul_f32_e32 v29, v1, v26
	;; [unrolled: 1-line block ×3, first 2 shown]
	s_waitcnt lgkmcnt(2)
	v_fma_f32 v21, v1, v15, -v21
	v_fma_f32 v31, -v1, v14, v24
	v_div_scale_f32 v30, null, v8, v8, v23
	v_mul_f32_e32 v29, v29, v14
	v_mul_f32_e32 v26, v1, v26
	v_fma_f32 v33, -v22, v27, 1.0
	v_rcp_f32_e32 v34, v30
	v_mul_f32_e32 v25, v8, v8
	v_mul_f32_e32 v20, v20, v29
	;; [unrolled: 1-line block ×3, first 2 shown]
	v_fmac_f32_e32 v27, v33, v27
	v_fmac_f32_e32 v31, v14, v14
	v_mul_f32_e32 v26, v26, v14
	v_mul_f32_e32 v32, v8, v25
	v_div_scale_f32 v28, null, v25, v25, v20
	v_mul_f32_e32 v29, v35, v27
	v_fma_f32 v33, -v30, v34, 1.0
	v_mul_f32_e32 v26, v31, v26
	v_add_f32_e32 v16, v9, v15
	v_div_scale_f32 v36, s0, v23, v8, v23
	v_fma_f32 v38, -v22, v29, v35
	v_fmac_f32_e32 v34, v33, v34
	v_div_scale_f32 v33, null, v8, v8, v21
	v_rcp_f32_e32 v37, v28
	v_fmac_f32_e32 v29, v38, v27
	v_mul_f32_e32 v15, v24, v15
	v_rcp_f32_e32 v39, v33
	v_div_scale_f32 v24, null, v32, v32, v26
	v_fma_f32 v22, -v22, v29, v35
	v_mul_f32_e32 v38, v36, v34
	v_mul_f32_e32 v19, 0x40c00000, v19
	v_mul_f32_e32 v17, 4.0, v17
	v_fma_f32 v40, -v28, v37, 1.0
	v_div_fmas_f32 v22, v22, v27, v29
	v_mul_f32_e32 v27, v14, v14
	v_rcp_f32_e32 v29, v24
	v_mul_f32_e32 v14, v10, v14
	v_fma_f32 v35, -v30, v38, v36
	v_fmac_f32_e32 v37, v40, v37
	v_fmac_f32_e32 v15, v9, v27
	v_fma_f32 v27, -v33, v39, 1.0
	s_waitcnt lgkmcnt(1)
	v_fma_f32 v1, v1, v13, -v14
	v_fmac_f32_e32 v38, v35, v34
	v_div_scale_f32 v9, s1, v20, v25, v20
	v_mul_f32_e32 v15, v19, v15
	v_fmac_f32_e32 v39, v27, v39
	v_fma_f32 v35, -v24, v29, 1.0
	v_mul_f32_e32 v1, v17, v1
	v_fma_f32 v19, -v30, v38, v36
	v_div_scale_f32 v27, null, v25, v25, v15
	v_mul_f32_e32 v30, v9, v37
	v_fmac_f32_e32 v29, v35, v29
	v_div_scale_f32 v35, null, v8, v8, v1
	v_rcp_f32_e32 v14, v27
	v_div_scale_f32 v31, s2, v21, v8, v21
	s_mov_b32 vcc_lo, s0
	v_fma_f32 v17, -v28, v30, v9
	v_div_scale_f32 v36, s0, v26, v32, v26
	v_rcp_f32_e32 v40, v35
	v_div_fmas_f32 v19, v19, v34, v38
	v_mul_f32_e32 v34, v31, v39
	v_fma_f32 v38, -v27, v14, 1.0
	v_fmac_f32_e32 v30, v17, v37
	v_mul_f32_e32 v41, v36, v29
	v_add_f32_e32 v10, v10, v13
	v_fma_f32 v17, -v33, v34, v31
	v_fmac_f32_e32 v14, v38, v14
	v_div_scale_f32 v38, s3, v15, v25, v15
	v_fma_f32 v9, -v28, v30, v9
	v_fma_f32 v13, -v24, v41, v36
	v_fma_f32 v28, -v35, v40, 1.0
	v_fmac_f32_e32 v34, v17, v39
	v_mul_f32_e32 v17, v38, v14
	s_mov_b32 vcc_lo, s1
	v_fmac_f32_e32 v41, v13, v29
	v_fmac_f32_e32 v40, v28, v40
	v_div_scale_f32 v28, s1, v1, v8, v1
	v_div_fmas_f32 v9, v9, v37, v30
	v_fma_f32 v30, -v33, v34, v31
	v_fma_f32 v13, -v27, v17, v38
	v_fma_f32 v24, -v24, v41, v36
	v_mul_f32_e32 v31, v28, v40
	s_mov_b32 vcc_lo, s2
	v_div_fixup_f32 v9, v9, v25, v20
	v_div_fmas_f32 v30, v30, v39, v34
	s_mov_b32 vcc_lo, s0
	v_fmac_f32_e32 v17, v13, v14
	v_div_fmas_f32 v13, v24, v29, v41
	v_fma_f32 v24, -v35, v31, v28
	s_waitcnt lgkmcnt(0)
	v_add_f32_e32 v11, v11, v12
	s_mov_b32 vcc_lo, s3
	v_fma_f32 v12, -v27, v17, v38
	v_div_fixup_f32 v13, v13, v32, v26
	v_fmac_f32_e32 v31, v24, v40
	v_add_f32_e32 v9, v10, v9
	v_div_fmas_f32 v12, v12, v14, v17
	s_mov_b32 vcc_lo, s1
	v_fma_f32 v10, -v35, v31, v28
	v_div_fixup_f32 v14, v19, v8, v23
	v_add_f32_e32 v11, v11, v13
	v_div_fixup_f32 v12, v12, v25, v15
	v_div_fixup_f32 v13, v30, v8, v21
	v_div_fmas_f32 v10, v10, v40, v31
	v_div_fixup_f32 v15, v22, v8, v18
	v_add_f32_e32 v17, v16, v14
	v_add_f32_e32 v11, v12, v11
	;; [unrolled: 1-line block ×3, first 2 shown]
	v_div_fixup_f32 v1, v10, v8, v1
	v_cmp_lt_f32_e32 vcc_lo, v3, v5
	v_add_f32_e32 v4, v4, v15
	v_mov_b32_e32 v9, v17
	v_mov_b32_e32 v10, v18
	v_add_f32_e32 v11, v1, v11
	v_cndmask_b32_e32 v3, v3, v5, vcc_lo
	v_mov_b32_e32 v1, v8
.LBB8_28:
	s_or_b32 exec_lo, exec_lo, s7
	s_waitcnt lgkmcnt(0)
	v_or_b32_e32 v12, 16, v7
	v_add_nc_u32_e32 v6, 4, v6
	s_mov_b32 s7, exec_lo
	ds_bpermute_b32 v13, v12, v8
	ds_bpermute_b32 v14, v12, v2
	;; [unrolled: 1-line block ×7, first 2 shown]
	v_cmpx_gt_u32_e64 s4, v6
	s_cbranch_execz .LBB8_30
; %bb.29:
	s_waitcnt lgkmcnt(3)
	v_sub_f32_e32 v6, v15, v4
	v_cmp_gt_f32_e32 vcc_lo, v2, v14
	v_add_f32_e32 v15, v1, v13
	v_sub_f32_e32 v16, v1, v13
	v_mul_f32_e32 v20, v1, v1
	v_mul_f32_e32 v18, v6, v6
	v_cndmask_b32_e32 v2, v2, v14, vcc_lo
	v_mul_f32_e32 v14, v6, v13
	v_mul_f32_e32 v17, v9, v13
	v_fma_f32 v27, -v1, v13, v20
	v_mul_f32_e32 v22, v1, v18
	v_mul_f32_e32 v23, v6, v18
	v_div_scale_f32 v19, null, v15, v15, v14
	v_div_scale_f32 v31, vcc_lo, v14, v15, v14
	v_mul_f32_e32 v22, v22, v13
	v_rcp_f32_e32 v24, v19
	v_mul_f32_e32 v26, v1, v23
	v_mul_f32_e32 v23, v6, v23
	;; [unrolled: 1-line block ×3, first 2 shown]
	v_div_scale_f32 v29, null, v15, v15, v22
	v_mul_f32_e32 v26, v26, v13
	v_mul_f32_e32 v23, v1, v23
	v_mul_f32_e32 v25, 0x40400000, v6
	v_rcp_f32_e32 v32, v29
	v_fma_f32 v30, -v19, v24, 1.0
	v_mul_f32_e32 v16, v16, v26
	s_waitcnt lgkmcnt(2)
	v_fma_f32 v17, v1, v8, -v17
	v_div_scale_f32 v36, s0, v22, v15, v22
	v_fmac_f32_e32 v24, v30, v24
	v_fmac_f32_e32 v27, v13, v13
	v_mul_f32_e32 v23, v23, v13
	v_mul_f32_e32 v20, v20, v8
	v_fma_f32 v33, -v29, v32, 1.0
	v_mul_f32_e32 v26, v31, v24
	v_mul_f32_e32 v28, v15, v21
	;; [unrolled: 1-line block ×3, first 2 shown]
	v_div_scale_f32 v25, null, v21, v21, v16
	v_fma_f32 v35, -v19, v26, v31
	v_fmac_f32_e32 v32, v33, v32
	v_mul_f32_e32 v23, v27, v23
	v_mul_f32_e32 v18, 0x40c00000, v18
	v_div_scale_f32 v30, null, v15, v15, v17
	v_fmac_f32_e32 v26, v35, v24
	v_mul_f32_e32 v35, v36, v32
	v_rcp_f32_e32 v34, v25
	v_rcp_f32_e32 v33, v30
	v_mul_f32_e32 v6, 4.0, v6
	v_fma_f32 v19, -v19, v26, v31
	v_mul_f32_e32 v31, v13, v13
	v_mul_f32_e32 v13, v10, v13
	v_add_f32_e32 v8, v9, v8
	v_div_fmas_f32 v19, v19, v24, v26
	v_fmac_f32_e32 v20, v9, v31
	v_div_scale_f32 v24, null, v28, v28, v23
	v_fma_f32 v26, -v29, v35, v36
	v_fma_f32 v37, -v25, v34, 1.0
	v_mul_f32_e32 v18, v18, v20
	v_rcp_f32_e32 v31, v24
	s_waitcnt lgkmcnt(1)
	v_fma_f32 v1, v1, v7, -v13
	v_fmac_f32_e32 v35, v26, v32
	v_fmac_f32_e32 v34, v37, v34
	v_div_scale_f32 v26, null, v21, v21, v18
	v_div_fixup_f32 v14, v19, v15, v14
	v_div_scale_f32 v19, s1, v16, v21, v16
	v_rcp_f32_e32 v38, v26
	v_fma_f32 v27, -v30, v33, 1.0
	v_fma_f32 v37, -v24, v31, 1.0
	v_mul_f32_e32 v1, v6, v1
	v_mul_f32_e32 v20, v19, v34
	v_fma_f32 v13, -v29, v35, v36
	v_fmac_f32_e32 v33, v27, v33
	v_div_scale_f32 v27, s2, v17, v15, v17
	v_fmac_f32_e32 v31, v37, v31
	v_fma_f32 v37, -v26, v38, 1.0
	v_div_scale_f32 v39, null, v15, v15, v1
	v_fma_f32 v29, -v25, v20, v19
	v_mul_f32_e32 v36, v27, v33
	v_div_scale_f32 v6, s3, v23, v28, v23
	v_fmac_f32_e32 v38, v37, v38
	v_rcp_f32_e32 v37, v39
	v_fmac_f32_e32 v20, v29, v34
	v_fma_f32 v29, -v30, v36, v27
	v_mul_f32_e32 v40, v6, v31
	s_mov_b32 vcc_lo, s0
	v_div_scale_f32 v41, s4, v18, v21, v18
	v_div_fmas_f32 v13, v13, v32, v35
	v_fma_f32 v19, -v25, v20, v19
	v_fmac_f32_e32 v36, v29, v33
	v_fma_f32 v25, -v24, v40, v6
	v_fma_f32 v32, -v39, v37, 1.0
	s_mov_b32 vcc_lo, s1
	v_mul_f32_e32 v29, v41, v38
	v_div_fmas_f32 v19, v19, v34, v20
	v_fma_f32 v20, -v30, v36, v27
	v_fmac_f32_e32 v40, v25, v31
	v_fmac_f32_e32 v37, v32, v37
	v_div_scale_f32 v27, s0, v1, v15, v1
	v_fma_f32 v25, -v26, v29, v41
	v_fma_f32 v6, -v24, v40, v6
	s_mov_b32 vcc_lo, s2
	v_mul_f32_e32 v24, v27, v37
	v_div_fmas_f32 v20, v20, v33, v36
	v_fmac_f32_e32 v29, v25, v38
	s_mov_b32 vcc_lo, s3
	s_waitcnt lgkmcnt(0)
	v_add_f32_e32 v9, v11, v12
	v_fma_f32 v25, -v39, v24, v27
	v_div_fmas_f32 v6, v6, v31, v40
	v_fma_f32 v11, -v26, v29, v41
	s_mov_b32 vcc_lo, s4
	v_add_f32_e32 v7, v10, v7
	v_fmac_f32_e32 v24, v25, v37
	v_div_fixup_f32 v6, v6, v28, v23
	v_div_fmas_f32 v11, v11, v38, v29
	s_mov_b32 vcc_lo, s0
	v_div_fixup_f32 v10, v19, v21, v16
	v_fma_f32 v12, -v39, v24, v27
	v_add_f32_e32 v6, v9, v6
	v_div_fixup_f32 v9, v11, v21, v18
	v_add_f32_e32 v4, v4, v14
	v_add_f32_e32 v7, v7, v10
	v_div_fmas_f32 v11, v12, v37, v24
	v_div_fixup_f32 v12, v13, v15, v22
	v_div_fixup_f32 v10, v20, v15, v17
	v_add_f32_e32 v6, v9, v6
	v_cmp_lt_f32_e32 vcc_lo, v3, v5
	v_div_fixup_f32 v1, v11, v15, v1
	v_add_f32_e32 v9, v8, v12
	v_add_f32_e32 v10, v10, v7
	v_cndmask_b32_e32 v3, v3, v5, vcc_lo
	v_add_f32_e32 v11, v1, v6
	v_mov_b32_e32 v1, v15
.LBB8_30:
	s_or_b32 exec_lo, exec_lo, s7
.LBB8_31:
	s_or_b32 exec_lo, exec_lo, s5
.LBB8_32:
	s_mov_b32 s0, exec_lo
	v_cmpx_eq_u32_e32 0, v0
	s_cbranch_execz .LBB8_36
; %bb.33:
	s_waitcnt lgkmcnt(4)
	v_mov_b32_e32 v5, s20
	v_mov_b32_e32 v6, s21
	s_waitcnt lgkmcnt(1)
	v_mov_b32_e32 v7, s22
	v_mov_b32_e32 v8, s23
	;; [unrolled: 3-line block ×3, first 2 shown]
	v_mov_b32_e32 v14, s26
	s_cmp_eq_u64 s[12:13], 0
	s_cbranch_scc1 .LBB8_35
; %bb.34:
	v_mov_b32_e32 v5, v1
	v_mov_b32_e32 v6, v2
	;; [unrolled: 1-line block ×7, first 2 shown]
.LBB8_35:
	s_mul_i32 s0, s18, s17
	s_mul_hi_u32 s1, s18, s16
	s_mul_i32 s2, s19, s16
	s_add_i32 s0, s1, s0
	s_mul_i32 s1, s18, s16
	s_add_i32 s0, s0, s2
	s_mul_hi_u32 s2, s1, 28
	s_mul_i32 s0, s0, 28
	s_mul_i32 s1, s1, 28
	s_add_i32 s2, s2, s0
	s_add_u32 s0, s14, s1
	s_addc_u32 s1, s15, s2
	s_mul_i32 s2, s6, 28
	v_mov_b32_e32 v0, 0
	s_mul_hi_u32 s3, s6, 28
	s_add_u32 s0, s0, s2
	s_addc_u32 s1, s1, s3
	global_store_dwordx4 v0, v[5:8], s[0:1]
	global_store_dwordx3 v0, v[12:14], s[0:1] offset:16
.LBB8_36:
	s_endpgm
	.section	.rodata,"a",@progbits
	.p2align	6, 0x0
	.amdhsa_kernel _ZN7rocprim17ROCPRIM_400000_NS6detail17trampoline_kernelINS0_14default_configENS1_22reduce_config_selectorI18summary_stats_dataIfEEEZNS1_11reduce_implILb1ES3_PS6_S9_S6_23summary_stats_binary_opIfEEE10hipError_tPvRmT1_T2_T3_mT4_P12ihipStream_tbEUlT_E0_NS1_11comp_targetILNS1_3genE8ELNS1_11target_archE1030ELNS1_3gpuE2ELNS1_3repE0EEENS1_30default_config_static_selectorELNS0_4arch9wavefront6targetE0EEEvSF_
		.amdhsa_group_segment_fixed_size 448
		.amdhsa_private_segment_fixed_size 0
		.amdhsa_kernarg_size 80
		.amdhsa_user_sgpr_count 6
		.amdhsa_user_sgpr_private_segment_buffer 1
		.amdhsa_user_sgpr_dispatch_ptr 0
		.amdhsa_user_sgpr_queue_ptr 0
		.amdhsa_user_sgpr_kernarg_segment_ptr 1
		.amdhsa_user_sgpr_dispatch_id 0
		.amdhsa_user_sgpr_flat_scratch_init 0
		.amdhsa_user_sgpr_private_segment_size 0
		.amdhsa_wavefront_size32 1
		.amdhsa_uses_dynamic_stack 0
		.amdhsa_system_sgpr_private_segment_wavefront_offset 0
		.amdhsa_system_sgpr_workgroup_id_x 1
		.amdhsa_system_sgpr_workgroup_id_y 0
		.amdhsa_system_sgpr_workgroup_id_z 0
		.amdhsa_system_sgpr_workgroup_info 0
		.amdhsa_system_vgpr_workitem_id 0
		.amdhsa_next_free_vgpr 61
		.amdhsa_next_free_sgpr 28
		.amdhsa_reserve_vcc 1
		.amdhsa_reserve_flat_scratch 0
		.amdhsa_float_round_mode_32 0
		.amdhsa_float_round_mode_16_64 0
		.amdhsa_float_denorm_mode_32 3
		.amdhsa_float_denorm_mode_16_64 3
		.amdhsa_dx10_clamp 1
		.amdhsa_ieee_mode 1
		.amdhsa_fp16_overflow 0
		.amdhsa_workgroup_processor_mode 1
		.amdhsa_memory_ordered 1
		.amdhsa_forward_progress 1
		.amdhsa_shared_vgpr_count 0
		.amdhsa_exception_fp_ieee_invalid_op 0
		.amdhsa_exception_fp_denorm_src 0
		.amdhsa_exception_fp_ieee_div_zero 0
		.amdhsa_exception_fp_ieee_overflow 0
		.amdhsa_exception_fp_ieee_underflow 0
		.amdhsa_exception_fp_ieee_inexact 0
		.amdhsa_exception_int_div_zero 0
	.end_amdhsa_kernel
	.section	.text._ZN7rocprim17ROCPRIM_400000_NS6detail17trampoline_kernelINS0_14default_configENS1_22reduce_config_selectorI18summary_stats_dataIfEEEZNS1_11reduce_implILb1ES3_PS6_S9_S6_23summary_stats_binary_opIfEEE10hipError_tPvRmT1_T2_T3_mT4_P12ihipStream_tbEUlT_E0_NS1_11comp_targetILNS1_3genE8ELNS1_11target_archE1030ELNS1_3gpuE2ELNS1_3repE0EEENS1_30default_config_static_selectorELNS0_4arch9wavefront6targetE0EEEvSF_,"axG",@progbits,_ZN7rocprim17ROCPRIM_400000_NS6detail17trampoline_kernelINS0_14default_configENS1_22reduce_config_selectorI18summary_stats_dataIfEEEZNS1_11reduce_implILb1ES3_PS6_S9_S6_23summary_stats_binary_opIfEEE10hipError_tPvRmT1_T2_T3_mT4_P12ihipStream_tbEUlT_E0_NS1_11comp_targetILNS1_3genE8ELNS1_11target_archE1030ELNS1_3gpuE2ELNS1_3repE0EEENS1_30default_config_static_selectorELNS0_4arch9wavefront6targetE0EEEvSF_,comdat
.Lfunc_end8:
	.size	_ZN7rocprim17ROCPRIM_400000_NS6detail17trampoline_kernelINS0_14default_configENS1_22reduce_config_selectorI18summary_stats_dataIfEEEZNS1_11reduce_implILb1ES3_PS6_S9_S6_23summary_stats_binary_opIfEEE10hipError_tPvRmT1_T2_T3_mT4_P12ihipStream_tbEUlT_E0_NS1_11comp_targetILNS1_3genE8ELNS1_11target_archE1030ELNS1_3gpuE2ELNS1_3repE0EEENS1_30default_config_static_selectorELNS0_4arch9wavefront6targetE0EEEvSF_, .Lfunc_end8-_ZN7rocprim17ROCPRIM_400000_NS6detail17trampoline_kernelINS0_14default_configENS1_22reduce_config_selectorI18summary_stats_dataIfEEEZNS1_11reduce_implILb1ES3_PS6_S9_S6_23summary_stats_binary_opIfEEE10hipError_tPvRmT1_T2_T3_mT4_P12ihipStream_tbEUlT_E0_NS1_11comp_targetILNS1_3genE8ELNS1_11target_archE1030ELNS1_3gpuE2ELNS1_3repE0EEENS1_30default_config_static_selectorELNS0_4arch9wavefront6targetE0EEEvSF_
                                        ; -- End function
	.set _ZN7rocprim17ROCPRIM_400000_NS6detail17trampoline_kernelINS0_14default_configENS1_22reduce_config_selectorI18summary_stats_dataIfEEEZNS1_11reduce_implILb1ES3_PS6_S9_S6_23summary_stats_binary_opIfEEE10hipError_tPvRmT1_T2_T3_mT4_P12ihipStream_tbEUlT_E0_NS1_11comp_targetILNS1_3genE8ELNS1_11target_archE1030ELNS1_3gpuE2ELNS1_3repE0EEENS1_30default_config_static_selectorELNS0_4arch9wavefront6targetE0EEEvSF_.num_vgpr, 61
	.set _ZN7rocprim17ROCPRIM_400000_NS6detail17trampoline_kernelINS0_14default_configENS1_22reduce_config_selectorI18summary_stats_dataIfEEEZNS1_11reduce_implILb1ES3_PS6_S9_S6_23summary_stats_binary_opIfEEE10hipError_tPvRmT1_T2_T3_mT4_P12ihipStream_tbEUlT_E0_NS1_11comp_targetILNS1_3genE8ELNS1_11target_archE1030ELNS1_3gpuE2ELNS1_3repE0EEENS1_30default_config_static_selectorELNS0_4arch9wavefront6targetE0EEEvSF_.num_agpr, 0
	.set _ZN7rocprim17ROCPRIM_400000_NS6detail17trampoline_kernelINS0_14default_configENS1_22reduce_config_selectorI18summary_stats_dataIfEEEZNS1_11reduce_implILb1ES3_PS6_S9_S6_23summary_stats_binary_opIfEEE10hipError_tPvRmT1_T2_T3_mT4_P12ihipStream_tbEUlT_E0_NS1_11comp_targetILNS1_3genE8ELNS1_11target_archE1030ELNS1_3gpuE2ELNS1_3repE0EEENS1_30default_config_static_selectorELNS0_4arch9wavefront6targetE0EEEvSF_.numbered_sgpr, 28
	.set _ZN7rocprim17ROCPRIM_400000_NS6detail17trampoline_kernelINS0_14default_configENS1_22reduce_config_selectorI18summary_stats_dataIfEEEZNS1_11reduce_implILb1ES3_PS6_S9_S6_23summary_stats_binary_opIfEEE10hipError_tPvRmT1_T2_T3_mT4_P12ihipStream_tbEUlT_E0_NS1_11comp_targetILNS1_3genE8ELNS1_11target_archE1030ELNS1_3gpuE2ELNS1_3repE0EEENS1_30default_config_static_selectorELNS0_4arch9wavefront6targetE0EEEvSF_.num_named_barrier, 0
	.set _ZN7rocprim17ROCPRIM_400000_NS6detail17trampoline_kernelINS0_14default_configENS1_22reduce_config_selectorI18summary_stats_dataIfEEEZNS1_11reduce_implILb1ES3_PS6_S9_S6_23summary_stats_binary_opIfEEE10hipError_tPvRmT1_T2_T3_mT4_P12ihipStream_tbEUlT_E0_NS1_11comp_targetILNS1_3genE8ELNS1_11target_archE1030ELNS1_3gpuE2ELNS1_3repE0EEENS1_30default_config_static_selectorELNS0_4arch9wavefront6targetE0EEEvSF_.private_seg_size, 0
	.set _ZN7rocprim17ROCPRIM_400000_NS6detail17trampoline_kernelINS0_14default_configENS1_22reduce_config_selectorI18summary_stats_dataIfEEEZNS1_11reduce_implILb1ES3_PS6_S9_S6_23summary_stats_binary_opIfEEE10hipError_tPvRmT1_T2_T3_mT4_P12ihipStream_tbEUlT_E0_NS1_11comp_targetILNS1_3genE8ELNS1_11target_archE1030ELNS1_3gpuE2ELNS1_3repE0EEENS1_30default_config_static_selectorELNS0_4arch9wavefront6targetE0EEEvSF_.uses_vcc, 1
	.set _ZN7rocprim17ROCPRIM_400000_NS6detail17trampoline_kernelINS0_14default_configENS1_22reduce_config_selectorI18summary_stats_dataIfEEEZNS1_11reduce_implILb1ES3_PS6_S9_S6_23summary_stats_binary_opIfEEE10hipError_tPvRmT1_T2_T3_mT4_P12ihipStream_tbEUlT_E0_NS1_11comp_targetILNS1_3genE8ELNS1_11target_archE1030ELNS1_3gpuE2ELNS1_3repE0EEENS1_30default_config_static_selectorELNS0_4arch9wavefront6targetE0EEEvSF_.uses_flat_scratch, 0
	.set _ZN7rocprim17ROCPRIM_400000_NS6detail17trampoline_kernelINS0_14default_configENS1_22reduce_config_selectorI18summary_stats_dataIfEEEZNS1_11reduce_implILb1ES3_PS6_S9_S6_23summary_stats_binary_opIfEEE10hipError_tPvRmT1_T2_T3_mT4_P12ihipStream_tbEUlT_E0_NS1_11comp_targetILNS1_3genE8ELNS1_11target_archE1030ELNS1_3gpuE2ELNS1_3repE0EEENS1_30default_config_static_selectorELNS0_4arch9wavefront6targetE0EEEvSF_.has_dyn_sized_stack, 0
	.set _ZN7rocprim17ROCPRIM_400000_NS6detail17trampoline_kernelINS0_14default_configENS1_22reduce_config_selectorI18summary_stats_dataIfEEEZNS1_11reduce_implILb1ES3_PS6_S9_S6_23summary_stats_binary_opIfEEE10hipError_tPvRmT1_T2_T3_mT4_P12ihipStream_tbEUlT_E0_NS1_11comp_targetILNS1_3genE8ELNS1_11target_archE1030ELNS1_3gpuE2ELNS1_3repE0EEENS1_30default_config_static_selectorELNS0_4arch9wavefront6targetE0EEEvSF_.has_recursion, 0
	.set _ZN7rocprim17ROCPRIM_400000_NS6detail17trampoline_kernelINS0_14default_configENS1_22reduce_config_selectorI18summary_stats_dataIfEEEZNS1_11reduce_implILb1ES3_PS6_S9_S6_23summary_stats_binary_opIfEEE10hipError_tPvRmT1_T2_T3_mT4_P12ihipStream_tbEUlT_E0_NS1_11comp_targetILNS1_3genE8ELNS1_11target_archE1030ELNS1_3gpuE2ELNS1_3repE0EEENS1_30default_config_static_selectorELNS0_4arch9wavefront6targetE0EEEvSF_.has_indirect_call, 0
	.section	.AMDGPU.csdata,"",@progbits
; Kernel info:
; codeLenInByte = 15824
; TotalNumSgprs: 30
; NumVgprs: 61
; ScratchSize: 0
; MemoryBound: 1
; FloatMode: 240
; IeeeMode: 1
; LDSByteSize: 448 bytes/workgroup (compile time only)
; SGPRBlocks: 0
; VGPRBlocks: 7
; NumSGPRsForWavesPerEU: 30
; NumVGPRsForWavesPerEU: 61
; Occupancy: 16
; WaveLimiterHint : 1
; COMPUTE_PGM_RSRC2:SCRATCH_EN: 0
; COMPUTE_PGM_RSRC2:USER_SGPR: 6
; COMPUTE_PGM_RSRC2:TRAP_HANDLER: 0
; COMPUTE_PGM_RSRC2:TGID_X_EN: 1
; COMPUTE_PGM_RSRC2:TGID_Y_EN: 0
; COMPUTE_PGM_RSRC2:TGID_Z_EN: 0
; COMPUTE_PGM_RSRC2:TIDIG_COMP_CNT: 0
	.section	.text._ZN7rocprim17ROCPRIM_400000_NS6detail17trampoline_kernelINS0_14default_configENS1_22reduce_config_selectorI18summary_stats_dataIfEEEZNS1_11reduce_implILb1ES3_PS6_S9_S6_23summary_stats_binary_opIfEEE10hipError_tPvRmT1_T2_T3_mT4_P12ihipStream_tbEUlT_E1_NS1_11comp_targetILNS1_3genE0ELNS1_11target_archE4294967295ELNS1_3gpuE0ELNS1_3repE0EEENS1_30default_config_static_selectorELNS0_4arch9wavefront6targetE0EEEvSF_,"axG",@progbits,_ZN7rocprim17ROCPRIM_400000_NS6detail17trampoline_kernelINS0_14default_configENS1_22reduce_config_selectorI18summary_stats_dataIfEEEZNS1_11reduce_implILb1ES3_PS6_S9_S6_23summary_stats_binary_opIfEEE10hipError_tPvRmT1_T2_T3_mT4_P12ihipStream_tbEUlT_E1_NS1_11comp_targetILNS1_3genE0ELNS1_11target_archE4294967295ELNS1_3gpuE0ELNS1_3repE0EEENS1_30default_config_static_selectorELNS0_4arch9wavefront6targetE0EEEvSF_,comdat
	.protected	_ZN7rocprim17ROCPRIM_400000_NS6detail17trampoline_kernelINS0_14default_configENS1_22reduce_config_selectorI18summary_stats_dataIfEEEZNS1_11reduce_implILb1ES3_PS6_S9_S6_23summary_stats_binary_opIfEEE10hipError_tPvRmT1_T2_T3_mT4_P12ihipStream_tbEUlT_E1_NS1_11comp_targetILNS1_3genE0ELNS1_11target_archE4294967295ELNS1_3gpuE0ELNS1_3repE0EEENS1_30default_config_static_selectorELNS0_4arch9wavefront6targetE0EEEvSF_ ; -- Begin function _ZN7rocprim17ROCPRIM_400000_NS6detail17trampoline_kernelINS0_14default_configENS1_22reduce_config_selectorI18summary_stats_dataIfEEEZNS1_11reduce_implILb1ES3_PS6_S9_S6_23summary_stats_binary_opIfEEE10hipError_tPvRmT1_T2_T3_mT4_P12ihipStream_tbEUlT_E1_NS1_11comp_targetILNS1_3genE0ELNS1_11target_archE4294967295ELNS1_3gpuE0ELNS1_3repE0EEENS1_30default_config_static_selectorELNS0_4arch9wavefront6targetE0EEEvSF_
	.globl	_ZN7rocprim17ROCPRIM_400000_NS6detail17trampoline_kernelINS0_14default_configENS1_22reduce_config_selectorI18summary_stats_dataIfEEEZNS1_11reduce_implILb1ES3_PS6_S9_S6_23summary_stats_binary_opIfEEE10hipError_tPvRmT1_T2_T3_mT4_P12ihipStream_tbEUlT_E1_NS1_11comp_targetILNS1_3genE0ELNS1_11target_archE4294967295ELNS1_3gpuE0ELNS1_3repE0EEENS1_30default_config_static_selectorELNS0_4arch9wavefront6targetE0EEEvSF_
	.p2align	8
	.type	_ZN7rocprim17ROCPRIM_400000_NS6detail17trampoline_kernelINS0_14default_configENS1_22reduce_config_selectorI18summary_stats_dataIfEEEZNS1_11reduce_implILb1ES3_PS6_S9_S6_23summary_stats_binary_opIfEEE10hipError_tPvRmT1_T2_T3_mT4_P12ihipStream_tbEUlT_E1_NS1_11comp_targetILNS1_3genE0ELNS1_11target_archE4294967295ELNS1_3gpuE0ELNS1_3repE0EEENS1_30default_config_static_selectorELNS0_4arch9wavefront6targetE0EEEvSF_,@function
_ZN7rocprim17ROCPRIM_400000_NS6detail17trampoline_kernelINS0_14default_configENS1_22reduce_config_selectorI18summary_stats_dataIfEEEZNS1_11reduce_implILb1ES3_PS6_S9_S6_23summary_stats_binary_opIfEEE10hipError_tPvRmT1_T2_T3_mT4_P12ihipStream_tbEUlT_E1_NS1_11comp_targetILNS1_3genE0ELNS1_11target_archE4294967295ELNS1_3gpuE0ELNS1_3repE0EEENS1_30default_config_static_selectorELNS0_4arch9wavefront6targetE0EEEvSF_: ; @_ZN7rocprim17ROCPRIM_400000_NS6detail17trampoline_kernelINS0_14default_configENS1_22reduce_config_selectorI18summary_stats_dataIfEEEZNS1_11reduce_implILb1ES3_PS6_S9_S6_23summary_stats_binary_opIfEEE10hipError_tPvRmT1_T2_T3_mT4_P12ihipStream_tbEUlT_E1_NS1_11comp_targetILNS1_3genE0ELNS1_11target_archE4294967295ELNS1_3gpuE0ELNS1_3repE0EEENS1_30default_config_static_selectorELNS0_4arch9wavefront6targetE0EEEvSF_
; %bb.0:
	.section	.rodata,"a",@progbits
	.p2align	6, 0x0
	.amdhsa_kernel _ZN7rocprim17ROCPRIM_400000_NS6detail17trampoline_kernelINS0_14default_configENS1_22reduce_config_selectorI18summary_stats_dataIfEEEZNS1_11reduce_implILb1ES3_PS6_S9_S6_23summary_stats_binary_opIfEEE10hipError_tPvRmT1_T2_T3_mT4_P12ihipStream_tbEUlT_E1_NS1_11comp_targetILNS1_3genE0ELNS1_11target_archE4294967295ELNS1_3gpuE0ELNS1_3repE0EEENS1_30default_config_static_selectorELNS0_4arch9wavefront6targetE0EEEvSF_
		.amdhsa_group_segment_fixed_size 0
		.amdhsa_private_segment_fixed_size 0
		.amdhsa_kernarg_size 64
		.amdhsa_user_sgpr_count 6
		.amdhsa_user_sgpr_private_segment_buffer 1
		.amdhsa_user_sgpr_dispatch_ptr 0
		.amdhsa_user_sgpr_queue_ptr 0
		.amdhsa_user_sgpr_kernarg_segment_ptr 1
		.amdhsa_user_sgpr_dispatch_id 0
		.amdhsa_user_sgpr_flat_scratch_init 0
		.amdhsa_user_sgpr_private_segment_size 0
		.amdhsa_wavefront_size32 1
		.amdhsa_uses_dynamic_stack 0
		.amdhsa_system_sgpr_private_segment_wavefront_offset 0
		.amdhsa_system_sgpr_workgroup_id_x 1
		.amdhsa_system_sgpr_workgroup_id_y 0
		.amdhsa_system_sgpr_workgroup_id_z 0
		.amdhsa_system_sgpr_workgroup_info 0
		.amdhsa_system_vgpr_workitem_id 0
		.amdhsa_next_free_vgpr 1
		.amdhsa_next_free_sgpr 1
		.amdhsa_reserve_vcc 0
		.amdhsa_reserve_flat_scratch 0
		.amdhsa_float_round_mode_32 0
		.amdhsa_float_round_mode_16_64 0
		.amdhsa_float_denorm_mode_32 3
		.amdhsa_float_denorm_mode_16_64 3
		.amdhsa_dx10_clamp 1
		.amdhsa_ieee_mode 1
		.amdhsa_fp16_overflow 0
		.amdhsa_workgroup_processor_mode 1
		.amdhsa_memory_ordered 1
		.amdhsa_forward_progress 1
		.amdhsa_shared_vgpr_count 0
		.amdhsa_exception_fp_ieee_invalid_op 0
		.amdhsa_exception_fp_denorm_src 0
		.amdhsa_exception_fp_ieee_div_zero 0
		.amdhsa_exception_fp_ieee_overflow 0
		.amdhsa_exception_fp_ieee_underflow 0
		.amdhsa_exception_fp_ieee_inexact 0
		.amdhsa_exception_int_div_zero 0
	.end_amdhsa_kernel
	.section	.text._ZN7rocprim17ROCPRIM_400000_NS6detail17trampoline_kernelINS0_14default_configENS1_22reduce_config_selectorI18summary_stats_dataIfEEEZNS1_11reduce_implILb1ES3_PS6_S9_S6_23summary_stats_binary_opIfEEE10hipError_tPvRmT1_T2_T3_mT4_P12ihipStream_tbEUlT_E1_NS1_11comp_targetILNS1_3genE0ELNS1_11target_archE4294967295ELNS1_3gpuE0ELNS1_3repE0EEENS1_30default_config_static_selectorELNS0_4arch9wavefront6targetE0EEEvSF_,"axG",@progbits,_ZN7rocprim17ROCPRIM_400000_NS6detail17trampoline_kernelINS0_14default_configENS1_22reduce_config_selectorI18summary_stats_dataIfEEEZNS1_11reduce_implILb1ES3_PS6_S9_S6_23summary_stats_binary_opIfEEE10hipError_tPvRmT1_T2_T3_mT4_P12ihipStream_tbEUlT_E1_NS1_11comp_targetILNS1_3genE0ELNS1_11target_archE4294967295ELNS1_3gpuE0ELNS1_3repE0EEENS1_30default_config_static_selectorELNS0_4arch9wavefront6targetE0EEEvSF_,comdat
.Lfunc_end9:
	.size	_ZN7rocprim17ROCPRIM_400000_NS6detail17trampoline_kernelINS0_14default_configENS1_22reduce_config_selectorI18summary_stats_dataIfEEEZNS1_11reduce_implILb1ES3_PS6_S9_S6_23summary_stats_binary_opIfEEE10hipError_tPvRmT1_T2_T3_mT4_P12ihipStream_tbEUlT_E1_NS1_11comp_targetILNS1_3genE0ELNS1_11target_archE4294967295ELNS1_3gpuE0ELNS1_3repE0EEENS1_30default_config_static_selectorELNS0_4arch9wavefront6targetE0EEEvSF_, .Lfunc_end9-_ZN7rocprim17ROCPRIM_400000_NS6detail17trampoline_kernelINS0_14default_configENS1_22reduce_config_selectorI18summary_stats_dataIfEEEZNS1_11reduce_implILb1ES3_PS6_S9_S6_23summary_stats_binary_opIfEEE10hipError_tPvRmT1_T2_T3_mT4_P12ihipStream_tbEUlT_E1_NS1_11comp_targetILNS1_3genE0ELNS1_11target_archE4294967295ELNS1_3gpuE0ELNS1_3repE0EEENS1_30default_config_static_selectorELNS0_4arch9wavefront6targetE0EEEvSF_
                                        ; -- End function
	.set _ZN7rocprim17ROCPRIM_400000_NS6detail17trampoline_kernelINS0_14default_configENS1_22reduce_config_selectorI18summary_stats_dataIfEEEZNS1_11reduce_implILb1ES3_PS6_S9_S6_23summary_stats_binary_opIfEEE10hipError_tPvRmT1_T2_T3_mT4_P12ihipStream_tbEUlT_E1_NS1_11comp_targetILNS1_3genE0ELNS1_11target_archE4294967295ELNS1_3gpuE0ELNS1_3repE0EEENS1_30default_config_static_selectorELNS0_4arch9wavefront6targetE0EEEvSF_.num_vgpr, 0
	.set _ZN7rocprim17ROCPRIM_400000_NS6detail17trampoline_kernelINS0_14default_configENS1_22reduce_config_selectorI18summary_stats_dataIfEEEZNS1_11reduce_implILb1ES3_PS6_S9_S6_23summary_stats_binary_opIfEEE10hipError_tPvRmT1_T2_T3_mT4_P12ihipStream_tbEUlT_E1_NS1_11comp_targetILNS1_3genE0ELNS1_11target_archE4294967295ELNS1_3gpuE0ELNS1_3repE0EEENS1_30default_config_static_selectorELNS0_4arch9wavefront6targetE0EEEvSF_.num_agpr, 0
	.set _ZN7rocprim17ROCPRIM_400000_NS6detail17trampoline_kernelINS0_14default_configENS1_22reduce_config_selectorI18summary_stats_dataIfEEEZNS1_11reduce_implILb1ES3_PS6_S9_S6_23summary_stats_binary_opIfEEE10hipError_tPvRmT1_T2_T3_mT4_P12ihipStream_tbEUlT_E1_NS1_11comp_targetILNS1_3genE0ELNS1_11target_archE4294967295ELNS1_3gpuE0ELNS1_3repE0EEENS1_30default_config_static_selectorELNS0_4arch9wavefront6targetE0EEEvSF_.numbered_sgpr, 0
	.set _ZN7rocprim17ROCPRIM_400000_NS6detail17trampoline_kernelINS0_14default_configENS1_22reduce_config_selectorI18summary_stats_dataIfEEEZNS1_11reduce_implILb1ES3_PS6_S9_S6_23summary_stats_binary_opIfEEE10hipError_tPvRmT1_T2_T3_mT4_P12ihipStream_tbEUlT_E1_NS1_11comp_targetILNS1_3genE0ELNS1_11target_archE4294967295ELNS1_3gpuE0ELNS1_3repE0EEENS1_30default_config_static_selectorELNS0_4arch9wavefront6targetE0EEEvSF_.num_named_barrier, 0
	.set _ZN7rocprim17ROCPRIM_400000_NS6detail17trampoline_kernelINS0_14default_configENS1_22reduce_config_selectorI18summary_stats_dataIfEEEZNS1_11reduce_implILb1ES3_PS6_S9_S6_23summary_stats_binary_opIfEEE10hipError_tPvRmT1_T2_T3_mT4_P12ihipStream_tbEUlT_E1_NS1_11comp_targetILNS1_3genE0ELNS1_11target_archE4294967295ELNS1_3gpuE0ELNS1_3repE0EEENS1_30default_config_static_selectorELNS0_4arch9wavefront6targetE0EEEvSF_.private_seg_size, 0
	.set _ZN7rocprim17ROCPRIM_400000_NS6detail17trampoline_kernelINS0_14default_configENS1_22reduce_config_selectorI18summary_stats_dataIfEEEZNS1_11reduce_implILb1ES3_PS6_S9_S6_23summary_stats_binary_opIfEEE10hipError_tPvRmT1_T2_T3_mT4_P12ihipStream_tbEUlT_E1_NS1_11comp_targetILNS1_3genE0ELNS1_11target_archE4294967295ELNS1_3gpuE0ELNS1_3repE0EEENS1_30default_config_static_selectorELNS0_4arch9wavefront6targetE0EEEvSF_.uses_vcc, 0
	.set _ZN7rocprim17ROCPRIM_400000_NS6detail17trampoline_kernelINS0_14default_configENS1_22reduce_config_selectorI18summary_stats_dataIfEEEZNS1_11reduce_implILb1ES3_PS6_S9_S6_23summary_stats_binary_opIfEEE10hipError_tPvRmT1_T2_T3_mT4_P12ihipStream_tbEUlT_E1_NS1_11comp_targetILNS1_3genE0ELNS1_11target_archE4294967295ELNS1_3gpuE0ELNS1_3repE0EEENS1_30default_config_static_selectorELNS0_4arch9wavefront6targetE0EEEvSF_.uses_flat_scratch, 0
	.set _ZN7rocprim17ROCPRIM_400000_NS6detail17trampoline_kernelINS0_14default_configENS1_22reduce_config_selectorI18summary_stats_dataIfEEEZNS1_11reduce_implILb1ES3_PS6_S9_S6_23summary_stats_binary_opIfEEE10hipError_tPvRmT1_T2_T3_mT4_P12ihipStream_tbEUlT_E1_NS1_11comp_targetILNS1_3genE0ELNS1_11target_archE4294967295ELNS1_3gpuE0ELNS1_3repE0EEENS1_30default_config_static_selectorELNS0_4arch9wavefront6targetE0EEEvSF_.has_dyn_sized_stack, 0
	.set _ZN7rocprim17ROCPRIM_400000_NS6detail17trampoline_kernelINS0_14default_configENS1_22reduce_config_selectorI18summary_stats_dataIfEEEZNS1_11reduce_implILb1ES3_PS6_S9_S6_23summary_stats_binary_opIfEEE10hipError_tPvRmT1_T2_T3_mT4_P12ihipStream_tbEUlT_E1_NS1_11comp_targetILNS1_3genE0ELNS1_11target_archE4294967295ELNS1_3gpuE0ELNS1_3repE0EEENS1_30default_config_static_selectorELNS0_4arch9wavefront6targetE0EEEvSF_.has_recursion, 0
	.set _ZN7rocprim17ROCPRIM_400000_NS6detail17trampoline_kernelINS0_14default_configENS1_22reduce_config_selectorI18summary_stats_dataIfEEEZNS1_11reduce_implILb1ES3_PS6_S9_S6_23summary_stats_binary_opIfEEE10hipError_tPvRmT1_T2_T3_mT4_P12ihipStream_tbEUlT_E1_NS1_11comp_targetILNS1_3genE0ELNS1_11target_archE4294967295ELNS1_3gpuE0ELNS1_3repE0EEENS1_30default_config_static_selectorELNS0_4arch9wavefront6targetE0EEEvSF_.has_indirect_call, 0
	.section	.AMDGPU.csdata,"",@progbits
; Kernel info:
; codeLenInByte = 0
; TotalNumSgprs: 0
; NumVgprs: 0
; ScratchSize: 0
; MemoryBound: 0
; FloatMode: 240
; IeeeMode: 1
; LDSByteSize: 0 bytes/workgroup (compile time only)
; SGPRBlocks: 0
; VGPRBlocks: 0
; NumSGPRsForWavesPerEU: 1
; NumVGPRsForWavesPerEU: 1
; Occupancy: 16
; WaveLimiterHint : 0
; COMPUTE_PGM_RSRC2:SCRATCH_EN: 0
; COMPUTE_PGM_RSRC2:USER_SGPR: 6
; COMPUTE_PGM_RSRC2:TRAP_HANDLER: 0
; COMPUTE_PGM_RSRC2:TGID_X_EN: 1
; COMPUTE_PGM_RSRC2:TGID_Y_EN: 0
; COMPUTE_PGM_RSRC2:TGID_Z_EN: 0
; COMPUTE_PGM_RSRC2:TIDIG_COMP_CNT: 0
	.section	.text._ZN7rocprim17ROCPRIM_400000_NS6detail17trampoline_kernelINS0_14default_configENS1_22reduce_config_selectorI18summary_stats_dataIfEEEZNS1_11reduce_implILb1ES3_PS6_S9_S6_23summary_stats_binary_opIfEEE10hipError_tPvRmT1_T2_T3_mT4_P12ihipStream_tbEUlT_E1_NS1_11comp_targetILNS1_3genE5ELNS1_11target_archE942ELNS1_3gpuE9ELNS1_3repE0EEENS1_30default_config_static_selectorELNS0_4arch9wavefront6targetE0EEEvSF_,"axG",@progbits,_ZN7rocprim17ROCPRIM_400000_NS6detail17trampoline_kernelINS0_14default_configENS1_22reduce_config_selectorI18summary_stats_dataIfEEEZNS1_11reduce_implILb1ES3_PS6_S9_S6_23summary_stats_binary_opIfEEE10hipError_tPvRmT1_T2_T3_mT4_P12ihipStream_tbEUlT_E1_NS1_11comp_targetILNS1_3genE5ELNS1_11target_archE942ELNS1_3gpuE9ELNS1_3repE0EEENS1_30default_config_static_selectorELNS0_4arch9wavefront6targetE0EEEvSF_,comdat
	.protected	_ZN7rocprim17ROCPRIM_400000_NS6detail17trampoline_kernelINS0_14default_configENS1_22reduce_config_selectorI18summary_stats_dataIfEEEZNS1_11reduce_implILb1ES3_PS6_S9_S6_23summary_stats_binary_opIfEEE10hipError_tPvRmT1_T2_T3_mT4_P12ihipStream_tbEUlT_E1_NS1_11comp_targetILNS1_3genE5ELNS1_11target_archE942ELNS1_3gpuE9ELNS1_3repE0EEENS1_30default_config_static_selectorELNS0_4arch9wavefront6targetE0EEEvSF_ ; -- Begin function _ZN7rocprim17ROCPRIM_400000_NS6detail17trampoline_kernelINS0_14default_configENS1_22reduce_config_selectorI18summary_stats_dataIfEEEZNS1_11reduce_implILb1ES3_PS6_S9_S6_23summary_stats_binary_opIfEEE10hipError_tPvRmT1_T2_T3_mT4_P12ihipStream_tbEUlT_E1_NS1_11comp_targetILNS1_3genE5ELNS1_11target_archE942ELNS1_3gpuE9ELNS1_3repE0EEENS1_30default_config_static_selectorELNS0_4arch9wavefront6targetE0EEEvSF_
	.globl	_ZN7rocprim17ROCPRIM_400000_NS6detail17trampoline_kernelINS0_14default_configENS1_22reduce_config_selectorI18summary_stats_dataIfEEEZNS1_11reduce_implILb1ES3_PS6_S9_S6_23summary_stats_binary_opIfEEE10hipError_tPvRmT1_T2_T3_mT4_P12ihipStream_tbEUlT_E1_NS1_11comp_targetILNS1_3genE5ELNS1_11target_archE942ELNS1_3gpuE9ELNS1_3repE0EEENS1_30default_config_static_selectorELNS0_4arch9wavefront6targetE0EEEvSF_
	.p2align	8
	.type	_ZN7rocprim17ROCPRIM_400000_NS6detail17trampoline_kernelINS0_14default_configENS1_22reduce_config_selectorI18summary_stats_dataIfEEEZNS1_11reduce_implILb1ES3_PS6_S9_S6_23summary_stats_binary_opIfEEE10hipError_tPvRmT1_T2_T3_mT4_P12ihipStream_tbEUlT_E1_NS1_11comp_targetILNS1_3genE5ELNS1_11target_archE942ELNS1_3gpuE9ELNS1_3repE0EEENS1_30default_config_static_selectorELNS0_4arch9wavefront6targetE0EEEvSF_,@function
_ZN7rocprim17ROCPRIM_400000_NS6detail17trampoline_kernelINS0_14default_configENS1_22reduce_config_selectorI18summary_stats_dataIfEEEZNS1_11reduce_implILb1ES3_PS6_S9_S6_23summary_stats_binary_opIfEEE10hipError_tPvRmT1_T2_T3_mT4_P12ihipStream_tbEUlT_E1_NS1_11comp_targetILNS1_3genE5ELNS1_11target_archE942ELNS1_3gpuE9ELNS1_3repE0EEENS1_30default_config_static_selectorELNS0_4arch9wavefront6targetE0EEEvSF_: ; @_ZN7rocprim17ROCPRIM_400000_NS6detail17trampoline_kernelINS0_14default_configENS1_22reduce_config_selectorI18summary_stats_dataIfEEEZNS1_11reduce_implILb1ES3_PS6_S9_S6_23summary_stats_binary_opIfEEE10hipError_tPvRmT1_T2_T3_mT4_P12ihipStream_tbEUlT_E1_NS1_11comp_targetILNS1_3genE5ELNS1_11target_archE942ELNS1_3gpuE9ELNS1_3repE0EEENS1_30default_config_static_selectorELNS0_4arch9wavefront6targetE0EEEvSF_
; %bb.0:
	.section	.rodata,"a",@progbits
	.p2align	6, 0x0
	.amdhsa_kernel _ZN7rocprim17ROCPRIM_400000_NS6detail17trampoline_kernelINS0_14default_configENS1_22reduce_config_selectorI18summary_stats_dataIfEEEZNS1_11reduce_implILb1ES3_PS6_S9_S6_23summary_stats_binary_opIfEEE10hipError_tPvRmT1_T2_T3_mT4_P12ihipStream_tbEUlT_E1_NS1_11comp_targetILNS1_3genE5ELNS1_11target_archE942ELNS1_3gpuE9ELNS1_3repE0EEENS1_30default_config_static_selectorELNS0_4arch9wavefront6targetE0EEEvSF_
		.amdhsa_group_segment_fixed_size 0
		.amdhsa_private_segment_fixed_size 0
		.amdhsa_kernarg_size 64
		.amdhsa_user_sgpr_count 6
		.amdhsa_user_sgpr_private_segment_buffer 1
		.amdhsa_user_sgpr_dispatch_ptr 0
		.amdhsa_user_sgpr_queue_ptr 0
		.amdhsa_user_sgpr_kernarg_segment_ptr 1
		.amdhsa_user_sgpr_dispatch_id 0
		.amdhsa_user_sgpr_flat_scratch_init 0
		.amdhsa_user_sgpr_private_segment_size 0
		.amdhsa_wavefront_size32 1
		.amdhsa_uses_dynamic_stack 0
		.amdhsa_system_sgpr_private_segment_wavefront_offset 0
		.amdhsa_system_sgpr_workgroup_id_x 1
		.amdhsa_system_sgpr_workgroup_id_y 0
		.amdhsa_system_sgpr_workgroup_id_z 0
		.amdhsa_system_sgpr_workgroup_info 0
		.amdhsa_system_vgpr_workitem_id 0
		.amdhsa_next_free_vgpr 1
		.amdhsa_next_free_sgpr 1
		.amdhsa_reserve_vcc 0
		.amdhsa_reserve_flat_scratch 0
		.amdhsa_float_round_mode_32 0
		.amdhsa_float_round_mode_16_64 0
		.amdhsa_float_denorm_mode_32 3
		.amdhsa_float_denorm_mode_16_64 3
		.amdhsa_dx10_clamp 1
		.amdhsa_ieee_mode 1
		.amdhsa_fp16_overflow 0
		.amdhsa_workgroup_processor_mode 1
		.amdhsa_memory_ordered 1
		.amdhsa_forward_progress 1
		.amdhsa_shared_vgpr_count 0
		.amdhsa_exception_fp_ieee_invalid_op 0
		.amdhsa_exception_fp_denorm_src 0
		.amdhsa_exception_fp_ieee_div_zero 0
		.amdhsa_exception_fp_ieee_overflow 0
		.amdhsa_exception_fp_ieee_underflow 0
		.amdhsa_exception_fp_ieee_inexact 0
		.amdhsa_exception_int_div_zero 0
	.end_amdhsa_kernel
	.section	.text._ZN7rocprim17ROCPRIM_400000_NS6detail17trampoline_kernelINS0_14default_configENS1_22reduce_config_selectorI18summary_stats_dataIfEEEZNS1_11reduce_implILb1ES3_PS6_S9_S6_23summary_stats_binary_opIfEEE10hipError_tPvRmT1_T2_T3_mT4_P12ihipStream_tbEUlT_E1_NS1_11comp_targetILNS1_3genE5ELNS1_11target_archE942ELNS1_3gpuE9ELNS1_3repE0EEENS1_30default_config_static_selectorELNS0_4arch9wavefront6targetE0EEEvSF_,"axG",@progbits,_ZN7rocprim17ROCPRIM_400000_NS6detail17trampoline_kernelINS0_14default_configENS1_22reduce_config_selectorI18summary_stats_dataIfEEEZNS1_11reduce_implILb1ES3_PS6_S9_S6_23summary_stats_binary_opIfEEE10hipError_tPvRmT1_T2_T3_mT4_P12ihipStream_tbEUlT_E1_NS1_11comp_targetILNS1_3genE5ELNS1_11target_archE942ELNS1_3gpuE9ELNS1_3repE0EEENS1_30default_config_static_selectorELNS0_4arch9wavefront6targetE0EEEvSF_,comdat
.Lfunc_end10:
	.size	_ZN7rocprim17ROCPRIM_400000_NS6detail17trampoline_kernelINS0_14default_configENS1_22reduce_config_selectorI18summary_stats_dataIfEEEZNS1_11reduce_implILb1ES3_PS6_S9_S6_23summary_stats_binary_opIfEEE10hipError_tPvRmT1_T2_T3_mT4_P12ihipStream_tbEUlT_E1_NS1_11comp_targetILNS1_3genE5ELNS1_11target_archE942ELNS1_3gpuE9ELNS1_3repE0EEENS1_30default_config_static_selectorELNS0_4arch9wavefront6targetE0EEEvSF_, .Lfunc_end10-_ZN7rocprim17ROCPRIM_400000_NS6detail17trampoline_kernelINS0_14default_configENS1_22reduce_config_selectorI18summary_stats_dataIfEEEZNS1_11reduce_implILb1ES3_PS6_S9_S6_23summary_stats_binary_opIfEEE10hipError_tPvRmT1_T2_T3_mT4_P12ihipStream_tbEUlT_E1_NS1_11comp_targetILNS1_3genE5ELNS1_11target_archE942ELNS1_3gpuE9ELNS1_3repE0EEENS1_30default_config_static_selectorELNS0_4arch9wavefront6targetE0EEEvSF_
                                        ; -- End function
	.set _ZN7rocprim17ROCPRIM_400000_NS6detail17trampoline_kernelINS0_14default_configENS1_22reduce_config_selectorI18summary_stats_dataIfEEEZNS1_11reduce_implILb1ES3_PS6_S9_S6_23summary_stats_binary_opIfEEE10hipError_tPvRmT1_T2_T3_mT4_P12ihipStream_tbEUlT_E1_NS1_11comp_targetILNS1_3genE5ELNS1_11target_archE942ELNS1_3gpuE9ELNS1_3repE0EEENS1_30default_config_static_selectorELNS0_4arch9wavefront6targetE0EEEvSF_.num_vgpr, 0
	.set _ZN7rocprim17ROCPRIM_400000_NS6detail17trampoline_kernelINS0_14default_configENS1_22reduce_config_selectorI18summary_stats_dataIfEEEZNS1_11reduce_implILb1ES3_PS6_S9_S6_23summary_stats_binary_opIfEEE10hipError_tPvRmT1_T2_T3_mT4_P12ihipStream_tbEUlT_E1_NS1_11comp_targetILNS1_3genE5ELNS1_11target_archE942ELNS1_3gpuE9ELNS1_3repE0EEENS1_30default_config_static_selectorELNS0_4arch9wavefront6targetE0EEEvSF_.num_agpr, 0
	.set _ZN7rocprim17ROCPRIM_400000_NS6detail17trampoline_kernelINS0_14default_configENS1_22reduce_config_selectorI18summary_stats_dataIfEEEZNS1_11reduce_implILb1ES3_PS6_S9_S6_23summary_stats_binary_opIfEEE10hipError_tPvRmT1_T2_T3_mT4_P12ihipStream_tbEUlT_E1_NS1_11comp_targetILNS1_3genE5ELNS1_11target_archE942ELNS1_3gpuE9ELNS1_3repE0EEENS1_30default_config_static_selectorELNS0_4arch9wavefront6targetE0EEEvSF_.numbered_sgpr, 0
	.set _ZN7rocprim17ROCPRIM_400000_NS6detail17trampoline_kernelINS0_14default_configENS1_22reduce_config_selectorI18summary_stats_dataIfEEEZNS1_11reduce_implILb1ES3_PS6_S9_S6_23summary_stats_binary_opIfEEE10hipError_tPvRmT1_T2_T3_mT4_P12ihipStream_tbEUlT_E1_NS1_11comp_targetILNS1_3genE5ELNS1_11target_archE942ELNS1_3gpuE9ELNS1_3repE0EEENS1_30default_config_static_selectorELNS0_4arch9wavefront6targetE0EEEvSF_.num_named_barrier, 0
	.set _ZN7rocprim17ROCPRIM_400000_NS6detail17trampoline_kernelINS0_14default_configENS1_22reduce_config_selectorI18summary_stats_dataIfEEEZNS1_11reduce_implILb1ES3_PS6_S9_S6_23summary_stats_binary_opIfEEE10hipError_tPvRmT1_T2_T3_mT4_P12ihipStream_tbEUlT_E1_NS1_11comp_targetILNS1_3genE5ELNS1_11target_archE942ELNS1_3gpuE9ELNS1_3repE0EEENS1_30default_config_static_selectorELNS0_4arch9wavefront6targetE0EEEvSF_.private_seg_size, 0
	.set _ZN7rocprim17ROCPRIM_400000_NS6detail17trampoline_kernelINS0_14default_configENS1_22reduce_config_selectorI18summary_stats_dataIfEEEZNS1_11reduce_implILb1ES3_PS6_S9_S6_23summary_stats_binary_opIfEEE10hipError_tPvRmT1_T2_T3_mT4_P12ihipStream_tbEUlT_E1_NS1_11comp_targetILNS1_3genE5ELNS1_11target_archE942ELNS1_3gpuE9ELNS1_3repE0EEENS1_30default_config_static_selectorELNS0_4arch9wavefront6targetE0EEEvSF_.uses_vcc, 0
	.set _ZN7rocprim17ROCPRIM_400000_NS6detail17trampoline_kernelINS0_14default_configENS1_22reduce_config_selectorI18summary_stats_dataIfEEEZNS1_11reduce_implILb1ES3_PS6_S9_S6_23summary_stats_binary_opIfEEE10hipError_tPvRmT1_T2_T3_mT4_P12ihipStream_tbEUlT_E1_NS1_11comp_targetILNS1_3genE5ELNS1_11target_archE942ELNS1_3gpuE9ELNS1_3repE0EEENS1_30default_config_static_selectorELNS0_4arch9wavefront6targetE0EEEvSF_.uses_flat_scratch, 0
	.set _ZN7rocprim17ROCPRIM_400000_NS6detail17trampoline_kernelINS0_14default_configENS1_22reduce_config_selectorI18summary_stats_dataIfEEEZNS1_11reduce_implILb1ES3_PS6_S9_S6_23summary_stats_binary_opIfEEE10hipError_tPvRmT1_T2_T3_mT4_P12ihipStream_tbEUlT_E1_NS1_11comp_targetILNS1_3genE5ELNS1_11target_archE942ELNS1_3gpuE9ELNS1_3repE0EEENS1_30default_config_static_selectorELNS0_4arch9wavefront6targetE0EEEvSF_.has_dyn_sized_stack, 0
	.set _ZN7rocprim17ROCPRIM_400000_NS6detail17trampoline_kernelINS0_14default_configENS1_22reduce_config_selectorI18summary_stats_dataIfEEEZNS1_11reduce_implILb1ES3_PS6_S9_S6_23summary_stats_binary_opIfEEE10hipError_tPvRmT1_T2_T3_mT4_P12ihipStream_tbEUlT_E1_NS1_11comp_targetILNS1_3genE5ELNS1_11target_archE942ELNS1_3gpuE9ELNS1_3repE0EEENS1_30default_config_static_selectorELNS0_4arch9wavefront6targetE0EEEvSF_.has_recursion, 0
	.set _ZN7rocprim17ROCPRIM_400000_NS6detail17trampoline_kernelINS0_14default_configENS1_22reduce_config_selectorI18summary_stats_dataIfEEEZNS1_11reduce_implILb1ES3_PS6_S9_S6_23summary_stats_binary_opIfEEE10hipError_tPvRmT1_T2_T3_mT4_P12ihipStream_tbEUlT_E1_NS1_11comp_targetILNS1_3genE5ELNS1_11target_archE942ELNS1_3gpuE9ELNS1_3repE0EEENS1_30default_config_static_selectorELNS0_4arch9wavefront6targetE0EEEvSF_.has_indirect_call, 0
	.section	.AMDGPU.csdata,"",@progbits
; Kernel info:
; codeLenInByte = 0
; TotalNumSgprs: 0
; NumVgprs: 0
; ScratchSize: 0
; MemoryBound: 0
; FloatMode: 240
; IeeeMode: 1
; LDSByteSize: 0 bytes/workgroup (compile time only)
; SGPRBlocks: 0
; VGPRBlocks: 0
; NumSGPRsForWavesPerEU: 1
; NumVGPRsForWavesPerEU: 1
; Occupancy: 16
; WaveLimiterHint : 0
; COMPUTE_PGM_RSRC2:SCRATCH_EN: 0
; COMPUTE_PGM_RSRC2:USER_SGPR: 6
; COMPUTE_PGM_RSRC2:TRAP_HANDLER: 0
; COMPUTE_PGM_RSRC2:TGID_X_EN: 1
; COMPUTE_PGM_RSRC2:TGID_Y_EN: 0
; COMPUTE_PGM_RSRC2:TGID_Z_EN: 0
; COMPUTE_PGM_RSRC2:TIDIG_COMP_CNT: 0
	.section	.text._ZN7rocprim17ROCPRIM_400000_NS6detail17trampoline_kernelINS0_14default_configENS1_22reduce_config_selectorI18summary_stats_dataIfEEEZNS1_11reduce_implILb1ES3_PS6_S9_S6_23summary_stats_binary_opIfEEE10hipError_tPvRmT1_T2_T3_mT4_P12ihipStream_tbEUlT_E1_NS1_11comp_targetILNS1_3genE4ELNS1_11target_archE910ELNS1_3gpuE8ELNS1_3repE0EEENS1_30default_config_static_selectorELNS0_4arch9wavefront6targetE0EEEvSF_,"axG",@progbits,_ZN7rocprim17ROCPRIM_400000_NS6detail17trampoline_kernelINS0_14default_configENS1_22reduce_config_selectorI18summary_stats_dataIfEEEZNS1_11reduce_implILb1ES3_PS6_S9_S6_23summary_stats_binary_opIfEEE10hipError_tPvRmT1_T2_T3_mT4_P12ihipStream_tbEUlT_E1_NS1_11comp_targetILNS1_3genE4ELNS1_11target_archE910ELNS1_3gpuE8ELNS1_3repE0EEENS1_30default_config_static_selectorELNS0_4arch9wavefront6targetE0EEEvSF_,comdat
	.protected	_ZN7rocprim17ROCPRIM_400000_NS6detail17trampoline_kernelINS0_14default_configENS1_22reduce_config_selectorI18summary_stats_dataIfEEEZNS1_11reduce_implILb1ES3_PS6_S9_S6_23summary_stats_binary_opIfEEE10hipError_tPvRmT1_T2_T3_mT4_P12ihipStream_tbEUlT_E1_NS1_11comp_targetILNS1_3genE4ELNS1_11target_archE910ELNS1_3gpuE8ELNS1_3repE0EEENS1_30default_config_static_selectorELNS0_4arch9wavefront6targetE0EEEvSF_ ; -- Begin function _ZN7rocprim17ROCPRIM_400000_NS6detail17trampoline_kernelINS0_14default_configENS1_22reduce_config_selectorI18summary_stats_dataIfEEEZNS1_11reduce_implILb1ES3_PS6_S9_S6_23summary_stats_binary_opIfEEE10hipError_tPvRmT1_T2_T3_mT4_P12ihipStream_tbEUlT_E1_NS1_11comp_targetILNS1_3genE4ELNS1_11target_archE910ELNS1_3gpuE8ELNS1_3repE0EEENS1_30default_config_static_selectorELNS0_4arch9wavefront6targetE0EEEvSF_
	.globl	_ZN7rocprim17ROCPRIM_400000_NS6detail17trampoline_kernelINS0_14default_configENS1_22reduce_config_selectorI18summary_stats_dataIfEEEZNS1_11reduce_implILb1ES3_PS6_S9_S6_23summary_stats_binary_opIfEEE10hipError_tPvRmT1_T2_T3_mT4_P12ihipStream_tbEUlT_E1_NS1_11comp_targetILNS1_3genE4ELNS1_11target_archE910ELNS1_3gpuE8ELNS1_3repE0EEENS1_30default_config_static_selectorELNS0_4arch9wavefront6targetE0EEEvSF_
	.p2align	8
	.type	_ZN7rocprim17ROCPRIM_400000_NS6detail17trampoline_kernelINS0_14default_configENS1_22reduce_config_selectorI18summary_stats_dataIfEEEZNS1_11reduce_implILb1ES3_PS6_S9_S6_23summary_stats_binary_opIfEEE10hipError_tPvRmT1_T2_T3_mT4_P12ihipStream_tbEUlT_E1_NS1_11comp_targetILNS1_3genE4ELNS1_11target_archE910ELNS1_3gpuE8ELNS1_3repE0EEENS1_30default_config_static_selectorELNS0_4arch9wavefront6targetE0EEEvSF_,@function
_ZN7rocprim17ROCPRIM_400000_NS6detail17trampoline_kernelINS0_14default_configENS1_22reduce_config_selectorI18summary_stats_dataIfEEEZNS1_11reduce_implILb1ES3_PS6_S9_S6_23summary_stats_binary_opIfEEE10hipError_tPvRmT1_T2_T3_mT4_P12ihipStream_tbEUlT_E1_NS1_11comp_targetILNS1_3genE4ELNS1_11target_archE910ELNS1_3gpuE8ELNS1_3repE0EEENS1_30default_config_static_selectorELNS0_4arch9wavefront6targetE0EEEvSF_: ; @_ZN7rocprim17ROCPRIM_400000_NS6detail17trampoline_kernelINS0_14default_configENS1_22reduce_config_selectorI18summary_stats_dataIfEEEZNS1_11reduce_implILb1ES3_PS6_S9_S6_23summary_stats_binary_opIfEEE10hipError_tPvRmT1_T2_T3_mT4_P12ihipStream_tbEUlT_E1_NS1_11comp_targetILNS1_3genE4ELNS1_11target_archE910ELNS1_3gpuE8ELNS1_3repE0EEENS1_30default_config_static_selectorELNS0_4arch9wavefront6targetE0EEEvSF_
; %bb.0:
	.section	.rodata,"a",@progbits
	.p2align	6, 0x0
	.amdhsa_kernel _ZN7rocprim17ROCPRIM_400000_NS6detail17trampoline_kernelINS0_14default_configENS1_22reduce_config_selectorI18summary_stats_dataIfEEEZNS1_11reduce_implILb1ES3_PS6_S9_S6_23summary_stats_binary_opIfEEE10hipError_tPvRmT1_T2_T3_mT4_P12ihipStream_tbEUlT_E1_NS1_11comp_targetILNS1_3genE4ELNS1_11target_archE910ELNS1_3gpuE8ELNS1_3repE0EEENS1_30default_config_static_selectorELNS0_4arch9wavefront6targetE0EEEvSF_
		.amdhsa_group_segment_fixed_size 0
		.amdhsa_private_segment_fixed_size 0
		.amdhsa_kernarg_size 64
		.amdhsa_user_sgpr_count 6
		.amdhsa_user_sgpr_private_segment_buffer 1
		.amdhsa_user_sgpr_dispatch_ptr 0
		.amdhsa_user_sgpr_queue_ptr 0
		.amdhsa_user_sgpr_kernarg_segment_ptr 1
		.amdhsa_user_sgpr_dispatch_id 0
		.amdhsa_user_sgpr_flat_scratch_init 0
		.amdhsa_user_sgpr_private_segment_size 0
		.amdhsa_wavefront_size32 1
		.amdhsa_uses_dynamic_stack 0
		.amdhsa_system_sgpr_private_segment_wavefront_offset 0
		.amdhsa_system_sgpr_workgroup_id_x 1
		.amdhsa_system_sgpr_workgroup_id_y 0
		.amdhsa_system_sgpr_workgroup_id_z 0
		.amdhsa_system_sgpr_workgroup_info 0
		.amdhsa_system_vgpr_workitem_id 0
		.amdhsa_next_free_vgpr 1
		.amdhsa_next_free_sgpr 1
		.amdhsa_reserve_vcc 0
		.amdhsa_reserve_flat_scratch 0
		.amdhsa_float_round_mode_32 0
		.amdhsa_float_round_mode_16_64 0
		.amdhsa_float_denorm_mode_32 3
		.amdhsa_float_denorm_mode_16_64 3
		.amdhsa_dx10_clamp 1
		.amdhsa_ieee_mode 1
		.amdhsa_fp16_overflow 0
		.amdhsa_workgroup_processor_mode 1
		.amdhsa_memory_ordered 1
		.amdhsa_forward_progress 1
		.amdhsa_shared_vgpr_count 0
		.amdhsa_exception_fp_ieee_invalid_op 0
		.amdhsa_exception_fp_denorm_src 0
		.amdhsa_exception_fp_ieee_div_zero 0
		.amdhsa_exception_fp_ieee_overflow 0
		.amdhsa_exception_fp_ieee_underflow 0
		.amdhsa_exception_fp_ieee_inexact 0
		.amdhsa_exception_int_div_zero 0
	.end_amdhsa_kernel
	.section	.text._ZN7rocprim17ROCPRIM_400000_NS6detail17trampoline_kernelINS0_14default_configENS1_22reduce_config_selectorI18summary_stats_dataIfEEEZNS1_11reduce_implILb1ES3_PS6_S9_S6_23summary_stats_binary_opIfEEE10hipError_tPvRmT1_T2_T3_mT4_P12ihipStream_tbEUlT_E1_NS1_11comp_targetILNS1_3genE4ELNS1_11target_archE910ELNS1_3gpuE8ELNS1_3repE0EEENS1_30default_config_static_selectorELNS0_4arch9wavefront6targetE0EEEvSF_,"axG",@progbits,_ZN7rocprim17ROCPRIM_400000_NS6detail17trampoline_kernelINS0_14default_configENS1_22reduce_config_selectorI18summary_stats_dataIfEEEZNS1_11reduce_implILb1ES3_PS6_S9_S6_23summary_stats_binary_opIfEEE10hipError_tPvRmT1_T2_T3_mT4_P12ihipStream_tbEUlT_E1_NS1_11comp_targetILNS1_3genE4ELNS1_11target_archE910ELNS1_3gpuE8ELNS1_3repE0EEENS1_30default_config_static_selectorELNS0_4arch9wavefront6targetE0EEEvSF_,comdat
.Lfunc_end11:
	.size	_ZN7rocprim17ROCPRIM_400000_NS6detail17trampoline_kernelINS0_14default_configENS1_22reduce_config_selectorI18summary_stats_dataIfEEEZNS1_11reduce_implILb1ES3_PS6_S9_S6_23summary_stats_binary_opIfEEE10hipError_tPvRmT1_T2_T3_mT4_P12ihipStream_tbEUlT_E1_NS1_11comp_targetILNS1_3genE4ELNS1_11target_archE910ELNS1_3gpuE8ELNS1_3repE0EEENS1_30default_config_static_selectorELNS0_4arch9wavefront6targetE0EEEvSF_, .Lfunc_end11-_ZN7rocprim17ROCPRIM_400000_NS6detail17trampoline_kernelINS0_14default_configENS1_22reduce_config_selectorI18summary_stats_dataIfEEEZNS1_11reduce_implILb1ES3_PS6_S9_S6_23summary_stats_binary_opIfEEE10hipError_tPvRmT1_T2_T3_mT4_P12ihipStream_tbEUlT_E1_NS1_11comp_targetILNS1_3genE4ELNS1_11target_archE910ELNS1_3gpuE8ELNS1_3repE0EEENS1_30default_config_static_selectorELNS0_4arch9wavefront6targetE0EEEvSF_
                                        ; -- End function
	.set _ZN7rocprim17ROCPRIM_400000_NS6detail17trampoline_kernelINS0_14default_configENS1_22reduce_config_selectorI18summary_stats_dataIfEEEZNS1_11reduce_implILb1ES3_PS6_S9_S6_23summary_stats_binary_opIfEEE10hipError_tPvRmT1_T2_T3_mT4_P12ihipStream_tbEUlT_E1_NS1_11comp_targetILNS1_3genE4ELNS1_11target_archE910ELNS1_3gpuE8ELNS1_3repE0EEENS1_30default_config_static_selectorELNS0_4arch9wavefront6targetE0EEEvSF_.num_vgpr, 0
	.set _ZN7rocprim17ROCPRIM_400000_NS6detail17trampoline_kernelINS0_14default_configENS1_22reduce_config_selectorI18summary_stats_dataIfEEEZNS1_11reduce_implILb1ES3_PS6_S9_S6_23summary_stats_binary_opIfEEE10hipError_tPvRmT1_T2_T3_mT4_P12ihipStream_tbEUlT_E1_NS1_11comp_targetILNS1_3genE4ELNS1_11target_archE910ELNS1_3gpuE8ELNS1_3repE0EEENS1_30default_config_static_selectorELNS0_4arch9wavefront6targetE0EEEvSF_.num_agpr, 0
	.set _ZN7rocprim17ROCPRIM_400000_NS6detail17trampoline_kernelINS0_14default_configENS1_22reduce_config_selectorI18summary_stats_dataIfEEEZNS1_11reduce_implILb1ES3_PS6_S9_S6_23summary_stats_binary_opIfEEE10hipError_tPvRmT1_T2_T3_mT4_P12ihipStream_tbEUlT_E1_NS1_11comp_targetILNS1_3genE4ELNS1_11target_archE910ELNS1_3gpuE8ELNS1_3repE0EEENS1_30default_config_static_selectorELNS0_4arch9wavefront6targetE0EEEvSF_.numbered_sgpr, 0
	.set _ZN7rocprim17ROCPRIM_400000_NS6detail17trampoline_kernelINS0_14default_configENS1_22reduce_config_selectorI18summary_stats_dataIfEEEZNS1_11reduce_implILb1ES3_PS6_S9_S6_23summary_stats_binary_opIfEEE10hipError_tPvRmT1_T2_T3_mT4_P12ihipStream_tbEUlT_E1_NS1_11comp_targetILNS1_3genE4ELNS1_11target_archE910ELNS1_3gpuE8ELNS1_3repE0EEENS1_30default_config_static_selectorELNS0_4arch9wavefront6targetE0EEEvSF_.num_named_barrier, 0
	.set _ZN7rocprim17ROCPRIM_400000_NS6detail17trampoline_kernelINS0_14default_configENS1_22reduce_config_selectorI18summary_stats_dataIfEEEZNS1_11reduce_implILb1ES3_PS6_S9_S6_23summary_stats_binary_opIfEEE10hipError_tPvRmT1_T2_T3_mT4_P12ihipStream_tbEUlT_E1_NS1_11comp_targetILNS1_3genE4ELNS1_11target_archE910ELNS1_3gpuE8ELNS1_3repE0EEENS1_30default_config_static_selectorELNS0_4arch9wavefront6targetE0EEEvSF_.private_seg_size, 0
	.set _ZN7rocprim17ROCPRIM_400000_NS6detail17trampoline_kernelINS0_14default_configENS1_22reduce_config_selectorI18summary_stats_dataIfEEEZNS1_11reduce_implILb1ES3_PS6_S9_S6_23summary_stats_binary_opIfEEE10hipError_tPvRmT1_T2_T3_mT4_P12ihipStream_tbEUlT_E1_NS1_11comp_targetILNS1_3genE4ELNS1_11target_archE910ELNS1_3gpuE8ELNS1_3repE0EEENS1_30default_config_static_selectorELNS0_4arch9wavefront6targetE0EEEvSF_.uses_vcc, 0
	.set _ZN7rocprim17ROCPRIM_400000_NS6detail17trampoline_kernelINS0_14default_configENS1_22reduce_config_selectorI18summary_stats_dataIfEEEZNS1_11reduce_implILb1ES3_PS6_S9_S6_23summary_stats_binary_opIfEEE10hipError_tPvRmT1_T2_T3_mT4_P12ihipStream_tbEUlT_E1_NS1_11comp_targetILNS1_3genE4ELNS1_11target_archE910ELNS1_3gpuE8ELNS1_3repE0EEENS1_30default_config_static_selectorELNS0_4arch9wavefront6targetE0EEEvSF_.uses_flat_scratch, 0
	.set _ZN7rocprim17ROCPRIM_400000_NS6detail17trampoline_kernelINS0_14default_configENS1_22reduce_config_selectorI18summary_stats_dataIfEEEZNS1_11reduce_implILb1ES3_PS6_S9_S6_23summary_stats_binary_opIfEEE10hipError_tPvRmT1_T2_T3_mT4_P12ihipStream_tbEUlT_E1_NS1_11comp_targetILNS1_3genE4ELNS1_11target_archE910ELNS1_3gpuE8ELNS1_3repE0EEENS1_30default_config_static_selectorELNS0_4arch9wavefront6targetE0EEEvSF_.has_dyn_sized_stack, 0
	.set _ZN7rocprim17ROCPRIM_400000_NS6detail17trampoline_kernelINS0_14default_configENS1_22reduce_config_selectorI18summary_stats_dataIfEEEZNS1_11reduce_implILb1ES3_PS6_S9_S6_23summary_stats_binary_opIfEEE10hipError_tPvRmT1_T2_T3_mT4_P12ihipStream_tbEUlT_E1_NS1_11comp_targetILNS1_3genE4ELNS1_11target_archE910ELNS1_3gpuE8ELNS1_3repE0EEENS1_30default_config_static_selectorELNS0_4arch9wavefront6targetE0EEEvSF_.has_recursion, 0
	.set _ZN7rocprim17ROCPRIM_400000_NS6detail17trampoline_kernelINS0_14default_configENS1_22reduce_config_selectorI18summary_stats_dataIfEEEZNS1_11reduce_implILb1ES3_PS6_S9_S6_23summary_stats_binary_opIfEEE10hipError_tPvRmT1_T2_T3_mT4_P12ihipStream_tbEUlT_E1_NS1_11comp_targetILNS1_3genE4ELNS1_11target_archE910ELNS1_3gpuE8ELNS1_3repE0EEENS1_30default_config_static_selectorELNS0_4arch9wavefront6targetE0EEEvSF_.has_indirect_call, 0
	.section	.AMDGPU.csdata,"",@progbits
; Kernel info:
; codeLenInByte = 0
; TotalNumSgprs: 0
; NumVgprs: 0
; ScratchSize: 0
; MemoryBound: 0
; FloatMode: 240
; IeeeMode: 1
; LDSByteSize: 0 bytes/workgroup (compile time only)
; SGPRBlocks: 0
; VGPRBlocks: 0
; NumSGPRsForWavesPerEU: 1
; NumVGPRsForWavesPerEU: 1
; Occupancy: 16
; WaveLimiterHint : 0
; COMPUTE_PGM_RSRC2:SCRATCH_EN: 0
; COMPUTE_PGM_RSRC2:USER_SGPR: 6
; COMPUTE_PGM_RSRC2:TRAP_HANDLER: 0
; COMPUTE_PGM_RSRC2:TGID_X_EN: 1
; COMPUTE_PGM_RSRC2:TGID_Y_EN: 0
; COMPUTE_PGM_RSRC2:TGID_Z_EN: 0
; COMPUTE_PGM_RSRC2:TIDIG_COMP_CNT: 0
	.section	.text._ZN7rocprim17ROCPRIM_400000_NS6detail17trampoline_kernelINS0_14default_configENS1_22reduce_config_selectorI18summary_stats_dataIfEEEZNS1_11reduce_implILb1ES3_PS6_S9_S6_23summary_stats_binary_opIfEEE10hipError_tPvRmT1_T2_T3_mT4_P12ihipStream_tbEUlT_E1_NS1_11comp_targetILNS1_3genE3ELNS1_11target_archE908ELNS1_3gpuE7ELNS1_3repE0EEENS1_30default_config_static_selectorELNS0_4arch9wavefront6targetE0EEEvSF_,"axG",@progbits,_ZN7rocprim17ROCPRIM_400000_NS6detail17trampoline_kernelINS0_14default_configENS1_22reduce_config_selectorI18summary_stats_dataIfEEEZNS1_11reduce_implILb1ES3_PS6_S9_S6_23summary_stats_binary_opIfEEE10hipError_tPvRmT1_T2_T3_mT4_P12ihipStream_tbEUlT_E1_NS1_11comp_targetILNS1_3genE3ELNS1_11target_archE908ELNS1_3gpuE7ELNS1_3repE0EEENS1_30default_config_static_selectorELNS0_4arch9wavefront6targetE0EEEvSF_,comdat
	.protected	_ZN7rocprim17ROCPRIM_400000_NS6detail17trampoline_kernelINS0_14default_configENS1_22reduce_config_selectorI18summary_stats_dataIfEEEZNS1_11reduce_implILb1ES3_PS6_S9_S6_23summary_stats_binary_opIfEEE10hipError_tPvRmT1_T2_T3_mT4_P12ihipStream_tbEUlT_E1_NS1_11comp_targetILNS1_3genE3ELNS1_11target_archE908ELNS1_3gpuE7ELNS1_3repE0EEENS1_30default_config_static_selectorELNS0_4arch9wavefront6targetE0EEEvSF_ ; -- Begin function _ZN7rocprim17ROCPRIM_400000_NS6detail17trampoline_kernelINS0_14default_configENS1_22reduce_config_selectorI18summary_stats_dataIfEEEZNS1_11reduce_implILb1ES3_PS6_S9_S6_23summary_stats_binary_opIfEEE10hipError_tPvRmT1_T2_T3_mT4_P12ihipStream_tbEUlT_E1_NS1_11comp_targetILNS1_3genE3ELNS1_11target_archE908ELNS1_3gpuE7ELNS1_3repE0EEENS1_30default_config_static_selectorELNS0_4arch9wavefront6targetE0EEEvSF_
	.globl	_ZN7rocprim17ROCPRIM_400000_NS6detail17trampoline_kernelINS0_14default_configENS1_22reduce_config_selectorI18summary_stats_dataIfEEEZNS1_11reduce_implILb1ES3_PS6_S9_S6_23summary_stats_binary_opIfEEE10hipError_tPvRmT1_T2_T3_mT4_P12ihipStream_tbEUlT_E1_NS1_11comp_targetILNS1_3genE3ELNS1_11target_archE908ELNS1_3gpuE7ELNS1_3repE0EEENS1_30default_config_static_selectorELNS0_4arch9wavefront6targetE0EEEvSF_
	.p2align	8
	.type	_ZN7rocprim17ROCPRIM_400000_NS6detail17trampoline_kernelINS0_14default_configENS1_22reduce_config_selectorI18summary_stats_dataIfEEEZNS1_11reduce_implILb1ES3_PS6_S9_S6_23summary_stats_binary_opIfEEE10hipError_tPvRmT1_T2_T3_mT4_P12ihipStream_tbEUlT_E1_NS1_11comp_targetILNS1_3genE3ELNS1_11target_archE908ELNS1_3gpuE7ELNS1_3repE0EEENS1_30default_config_static_selectorELNS0_4arch9wavefront6targetE0EEEvSF_,@function
_ZN7rocprim17ROCPRIM_400000_NS6detail17trampoline_kernelINS0_14default_configENS1_22reduce_config_selectorI18summary_stats_dataIfEEEZNS1_11reduce_implILb1ES3_PS6_S9_S6_23summary_stats_binary_opIfEEE10hipError_tPvRmT1_T2_T3_mT4_P12ihipStream_tbEUlT_E1_NS1_11comp_targetILNS1_3genE3ELNS1_11target_archE908ELNS1_3gpuE7ELNS1_3repE0EEENS1_30default_config_static_selectorELNS0_4arch9wavefront6targetE0EEEvSF_: ; @_ZN7rocprim17ROCPRIM_400000_NS6detail17trampoline_kernelINS0_14default_configENS1_22reduce_config_selectorI18summary_stats_dataIfEEEZNS1_11reduce_implILb1ES3_PS6_S9_S6_23summary_stats_binary_opIfEEE10hipError_tPvRmT1_T2_T3_mT4_P12ihipStream_tbEUlT_E1_NS1_11comp_targetILNS1_3genE3ELNS1_11target_archE908ELNS1_3gpuE7ELNS1_3repE0EEENS1_30default_config_static_selectorELNS0_4arch9wavefront6targetE0EEEvSF_
; %bb.0:
	.section	.rodata,"a",@progbits
	.p2align	6, 0x0
	.amdhsa_kernel _ZN7rocprim17ROCPRIM_400000_NS6detail17trampoline_kernelINS0_14default_configENS1_22reduce_config_selectorI18summary_stats_dataIfEEEZNS1_11reduce_implILb1ES3_PS6_S9_S6_23summary_stats_binary_opIfEEE10hipError_tPvRmT1_T2_T3_mT4_P12ihipStream_tbEUlT_E1_NS1_11comp_targetILNS1_3genE3ELNS1_11target_archE908ELNS1_3gpuE7ELNS1_3repE0EEENS1_30default_config_static_selectorELNS0_4arch9wavefront6targetE0EEEvSF_
		.amdhsa_group_segment_fixed_size 0
		.amdhsa_private_segment_fixed_size 0
		.amdhsa_kernarg_size 64
		.amdhsa_user_sgpr_count 6
		.amdhsa_user_sgpr_private_segment_buffer 1
		.amdhsa_user_sgpr_dispatch_ptr 0
		.amdhsa_user_sgpr_queue_ptr 0
		.amdhsa_user_sgpr_kernarg_segment_ptr 1
		.amdhsa_user_sgpr_dispatch_id 0
		.amdhsa_user_sgpr_flat_scratch_init 0
		.amdhsa_user_sgpr_private_segment_size 0
		.amdhsa_wavefront_size32 1
		.amdhsa_uses_dynamic_stack 0
		.amdhsa_system_sgpr_private_segment_wavefront_offset 0
		.amdhsa_system_sgpr_workgroup_id_x 1
		.amdhsa_system_sgpr_workgroup_id_y 0
		.amdhsa_system_sgpr_workgroup_id_z 0
		.amdhsa_system_sgpr_workgroup_info 0
		.amdhsa_system_vgpr_workitem_id 0
		.amdhsa_next_free_vgpr 1
		.amdhsa_next_free_sgpr 1
		.amdhsa_reserve_vcc 0
		.amdhsa_reserve_flat_scratch 0
		.amdhsa_float_round_mode_32 0
		.amdhsa_float_round_mode_16_64 0
		.amdhsa_float_denorm_mode_32 3
		.amdhsa_float_denorm_mode_16_64 3
		.amdhsa_dx10_clamp 1
		.amdhsa_ieee_mode 1
		.amdhsa_fp16_overflow 0
		.amdhsa_workgroup_processor_mode 1
		.amdhsa_memory_ordered 1
		.amdhsa_forward_progress 1
		.amdhsa_shared_vgpr_count 0
		.amdhsa_exception_fp_ieee_invalid_op 0
		.amdhsa_exception_fp_denorm_src 0
		.amdhsa_exception_fp_ieee_div_zero 0
		.amdhsa_exception_fp_ieee_overflow 0
		.amdhsa_exception_fp_ieee_underflow 0
		.amdhsa_exception_fp_ieee_inexact 0
		.amdhsa_exception_int_div_zero 0
	.end_amdhsa_kernel
	.section	.text._ZN7rocprim17ROCPRIM_400000_NS6detail17trampoline_kernelINS0_14default_configENS1_22reduce_config_selectorI18summary_stats_dataIfEEEZNS1_11reduce_implILb1ES3_PS6_S9_S6_23summary_stats_binary_opIfEEE10hipError_tPvRmT1_T2_T3_mT4_P12ihipStream_tbEUlT_E1_NS1_11comp_targetILNS1_3genE3ELNS1_11target_archE908ELNS1_3gpuE7ELNS1_3repE0EEENS1_30default_config_static_selectorELNS0_4arch9wavefront6targetE0EEEvSF_,"axG",@progbits,_ZN7rocprim17ROCPRIM_400000_NS6detail17trampoline_kernelINS0_14default_configENS1_22reduce_config_selectorI18summary_stats_dataIfEEEZNS1_11reduce_implILb1ES3_PS6_S9_S6_23summary_stats_binary_opIfEEE10hipError_tPvRmT1_T2_T3_mT4_P12ihipStream_tbEUlT_E1_NS1_11comp_targetILNS1_3genE3ELNS1_11target_archE908ELNS1_3gpuE7ELNS1_3repE0EEENS1_30default_config_static_selectorELNS0_4arch9wavefront6targetE0EEEvSF_,comdat
.Lfunc_end12:
	.size	_ZN7rocprim17ROCPRIM_400000_NS6detail17trampoline_kernelINS0_14default_configENS1_22reduce_config_selectorI18summary_stats_dataIfEEEZNS1_11reduce_implILb1ES3_PS6_S9_S6_23summary_stats_binary_opIfEEE10hipError_tPvRmT1_T2_T3_mT4_P12ihipStream_tbEUlT_E1_NS1_11comp_targetILNS1_3genE3ELNS1_11target_archE908ELNS1_3gpuE7ELNS1_3repE0EEENS1_30default_config_static_selectorELNS0_4arch9wavefront6targetE0EEEvSF_, .Lfunc_end12-_ZN7rocprim17ROCPRIM_400000_NS6detail17trampoline_kernelINS0_14default_configENS1_22reduce_config_selectorI18summary_stats_dataIfEEEZNS1_11reduce_implILb1ES3_PS6_S9_S6_23summary_stats_binary_opIfEEE10hipError_tPvRmT1_T2_T3_mT4_P12ihipStream_tbEUlT_E1_NS1_11comp_targetILNS1_3genE3ELNS1_11target_archE908ELNS1_3gpuE7ELNS1_3repE0EEENS1_30default_config_static_selectorELNS0_4arch9wavefront6targetE0EEEvSF_
                                        ; -- End function
	.set _ZN7rocprim17ROCPRIM_400000_NS6detail17trampoline_kernelINS0_14default_configENS1_22reduce_config_selectorI18summary_stats_dataIfEEEZNS1_11reduce_implILb1ES3_PS6_S9_S6_23summary_stats_binary_opIfEEE10hipError_tPvRmT1_T2_T3_mT4_P12ihipStream_tbEUlT_E1_NS1_11comp_targetILNS1_3genE3ELNS1_11target_archE908ELNS1_3gpuE7ELNS1_3repE0EEENS1_30default_config_static_selectorELNS0_4arch9wavefront6targetE0EEEvSF_.num_vgpr, 0
	.set _ZN7rocprim17ROCPRIM_400000_NS6detail17trampoline_kernelINS0_14default_configENS1_22reduce_config_selectorI18summary_stats_dataIfEEEZNS1_11reduce_implILb1ES3_PS6_S9_S6_23summary_stats_binary_opIfEEE10hipError_tPvRmT1_T2_T3_mT4_P12ihipStream_tbEUlT_E1_NS1_11comp_targetILNS1_3genE3ELNS1_11target_archE908ELNS1_3gpuE7ELNS1_3repE0EEENS1_30default_config_static_selectorELNS0_4arch9wavefront6targetE0EEEvSF_.num_agpr, 0
	.set _ZN7rocprim17ROCPRIM_400000_NS6detail17trampoline_kernelINS0_14default_configENS1_22reduce_config_selectorI18summary_stats_dataIfEEEZNS1_11reduce_implILb1ES3_PS6_S9_S6_23summary_stats_binary_opIfEEE10hipError_tPvRmT1_T2_T3_mT4_P12ihipStream_tbEUlT_E1_NS1_11comp_targetILNS1_3genE3ELNS1_11target_archE908ELNS1_3gpuE7ELNS1_3repE0EEENS1_30default_config_static_selectorELNS0_4arch9wavefront6targetE0EEEvSF_.numbered_sgpr, 0
	.set _ZN7rocprim17ROCPRIM_400000_NS6detail17trampoline_kernelINS0_14default_configENS1_22reduce_config_selectorI18summary_stats_dataIfEEEZNS1_11reduce_implILb1ES3_PS6_S9_S6_23summary_stats_binary_opIfEEE10hipError_tPvRmT1_T2_T3_mT4_P12ihipStream_tbEUlT_E1_NS1_11comp_targetILNS1_3genE3ELNS1_11target_archE908ELNS1_3gpuE7ELNS1_3repE0EEENS1_30default_config_static_selectorELNS0_4arch9wavefront6targetE0EEEvSF_.num_named_barrier, 0
	.set _ZN7rocprim17ROCPRIM_400000_NS6detail17trampoline_kernelINS0_14default_configENS1_22reduce_config_selectorI18summary_stats_dataIfEEEZNS1_11reduce_implILb1ES3_PS6_S9_S6_23summary_stats_binary_opIfEEE10hipError_tPvRmT1_T2_T3_mT4_P12ihipStream_tbEUlT_E1_NS1_11comp_targetILNS1_3genE3ELNS1_11target_archE908ELNS1_3gpuE7ELNS1_3repE0EEENS1_30default_config_static_selectorELNS0_4arch9wavefront6targetE0EEEvSF_.private_seg_size, 0
	.set _ZN7rocprim17ROCPRIM_400000_NS6detail17trampoline_kernelINS0_14default_configENS1_22reduce_config_selectorI18summary_stats_dataIfEEEZNS1_11reduce_implILb1ES3_PS6_S9_S6_23summary_stats_binary_opIfEEE10hipError_tPvRmT1_T2_T3_mT4_P12ihipStream_tbEUlT_E1_NS1_11comp_targetILNS1_3genE3ELNS1_11target_archE908ELNS1_3gpuE7ELNS1_3repE0EEENS1_30default_config_static_selectorELNS0_4arch9wavefront6targetE0EEEvSF_.uses_vcc, 0
	.set _ZN7rocprim17ROCPRIM_400000_NS6detail17trampoline_kernelINS0_14default_configENS1_22reduce_config_selectorI18summary_stats_dataIfEEEZNS1_11reduce_implILb1ES3_PS6_S9_S6_23summary_stats_binary_opIfEEE10hipError_tPvRmT1_T2_T3_mT4_P12ihipStream_tbEUlT_E1_NS1_11comp_targetILNS1_3genE3ELNS1_11target_archE908ELNS1_3gpuE7ELNS1_3repE0EEENS1_30default_config_static_selectorELNS0_4arch9wavefront6targetE0EEEvSF_.uses_flat_scratch, 0
	.set _ZN7rocprim17ROCPRIM_400000_NS6detail17trampoline_kernelINS0_14default_configENS1_22reduce_config_selectorI18summary_stats_dataIfEEEZNS1_11reduce_implILb1ES3_PS6_S9_S6_23summary_stats_binary_opIfEEE10hipError_tPvRmT1_T2_T3_mT4_P12ihipStream_tbEUlT_E1_NS1_11comp_targetILNS1_3genE3ELNS1_11target_archE908ELNS1_3gpuE7ELNS1_3repE0EEENS1_30default_config_static_selectorELNS0_4arch9wavefront6targetE0EEEvSF_.has_dyn_sized_stack, 0
	.set _ZN7rocprim17ROCPRIM_400000_NS6detail17trampoline_kernelINS0_14default_configENS1_22reduce_config_selectorI18summary_stats_dataIfEEEZNS1_11reduce_implILb1ES3_PS6_S9_S6_23summary_stats_binary_opIfEEE10hipError_tPvRmT1_T2_T3_mT4_P12ihipStream_tbEUlT_E1_NS1_11comp_targetILNS1_3genE3ELNS1_11target_archE908ELNS1_3gpuE7ELNS1_3repE0EEENS1_30default_config_static_selectorELNS0_4arch9wavefront6targetE0EEEvSF_.has_recursion, 0
	.set _ZN7rocprim17ROCPRIM_400000_NS6detail17trampoline_kernelINS0_14default_configENS1_22reduce_config_selectorI18summary_stats_dataIfEEEZNS1_11reduce_implILb1ES3_PS6_S9_S6_23summary_stats_binary_opIfEEE10hipError_tPvRmT1_T2_T3_mT4_P12ihipStream_tbEUlT_E1_NS1_11comp_targetILNS1_3genE3ELNS1_11target_archE908ELNS1_3gpuE7ELNS1_3repE0EEENS1_30default_config_static_selectorELNS0_4arch9wavefront6targetE0EEEvSF_.has_indirect_call, 0
	.section	.AMDGPU.csdata,"",@progbits
; Kernel info:
; codeLenInByte = 0
; TotalNumSgprs: 0
; NumVgprs: 0
; ScratchSize: 0
; MemoryBound: 0
; FloatMode: 240
; IeeeMode: 1
; LDSByteSize: 0 bytes/workgroup (compile time only)
; SGPRBlocks: 0
; VGPRBlocks: 0
; NumSGPRsForWavesPerEU: 1
; NumVGPRsForWavesPerEU: 1
; Occupancy: 16
; WaveLimiterHint : 0
; COMPUTE_PGM_RSRC2:SCRATCH_EN: 0
; COMPUTE_PGM_RSRC2:USER_SGPR: 6
; COMPUTE_PGM_RSRC2:TRAP_HANDLER: 0
; COMPUTE_PGM_RSRC2:TGID_X_EN: 1
; COMPUTE_PGM_RSRC2:TGID_Y_EN: 0
; COMPUTE_PGM_RSRC2:TGID_Z_EN: 0
; COMPUTE_PGM_RSRC2:TIDIG_COMP_CNT: 0
	.section	.text._ZN7rocprim17ROCPRIM_400000_NS6detail17trampoline_kernelINS0_14default_configENS1_22reduce_config_selectorI18summary_stats_dataIfEEEZNS1_11reduce_implILb1ES3_PS6_S9_S6_23summary_stats_binary_opIfEEE10hipError_tPvRmT1_T2_T3_mT4_P12ihipStream_tbEUlT_E1_NS1_11comp_targetILNS1_3genE2ELNS1_11target_archE906ELNS1_3gpuE6ELNS1_3repE0EEENS1_30default_config_static_selectorELNS0_4arch9wavefront6targetE0EEEvSF_,"axG",@progbits,_ZN7rocprim17ROCPRIM_400000_NS6detail17trampoline_kernelINS0_14default_configENS1_22reduce_config_selectorI18summary_stats_dataIfEEEZNS1_11reduce_implILb1ES3_PS6_S9_S6_23summary_stats_binary_opIfEEE10hipError_tPvRmT1_T2_T3_mT4_P12ihipStream_tbEUlT_E1_NS1_11comp_targetILNS1_3genE2ELNS1_11target_archE906ELNS1_3gpuE6ELNS1_3repE0EEENS1_30default_config_static_selectorELNS0_4arch9wavefront6targetE0EEEvSF_,comdat
	.protected	_ZN7rocprim17ROCPRIM_400000_NS6detail17trampoline_kernelINS0_14default_configENS1_22reduce_config_selectorI18summary_stats_dataIfEEEZNS1_11reduce_implILb1ES3_PS6_S9_S6_23summary_stats_binary_opIfEEE10hipError_tPvRmT1_T2_T3_mT4_P12ihipStream_tbEUlT_E1_NS1_11comp_targetILNS1_3genE2ELNS1_11target_archE906ELNS1_3gpuE6ELNS1_3repE0EEENS1_30default_config_static_selectorELNS0_4arch9wavefront6targetE0EEEvSF_ ; -- Begin function _ZN7rocprim17ROCPRIM_400000_NS6detail17trampoline_kernelINS0_14default_configENS1_22reduce_config_selectorI18summary_stats_dataIfEEEZNS1_11reduce_implILb1ES3_PS6_S9_S6_23summary_stats_binary_opIfEEE10hipError_tPvRmT1_T2_T3_mT4_P12ihipStream_tbEUlT_E1_NS1_11comp_targetILNS1_3genE2ELNS1_11target_archE906ELNS1_3gpuE6ELNS1_3repE0EEENS1_30default_config_static_selectorELNS0_4arch9wavefront6targetE0EEEvSF_
	.globl	_ZN7rocprim17ROCPRIM_400000_NS6detail17trampoline_kernelINS0_14default_configENS1_22reduce_config_selectorI18summary_stats_dataIfEEEZNS1_11reduce_implILb1ES3_PS6_S9_S6_23summary_stats_binary_opIfEEE10hipError_tPvRmT1_T2_T3_mT4_P12ihipStream_tbEUlT_E1_NS1_11comp_targetILNS1_3genE2ELNS1_11target_archE906ELNS1_3gpuE6ELNS1_3repE0EEENS1_30default_config_static_selectorELNS0_4arch9wavefront6targetE0EEEvSF_
	.p2align	8
	.type	_ZN7rocprim17ROCPRIM_400000_NS6detail17trampoline_kernelINS0_14default_configENS1_22reduce_config_selectorI18summary_stats_dataIfEEEZNS1_11reduce_implILb1ES3_PS6_S9_S6_23summary_stats_binary_opIfEEE10hipError_tPvRmT1_T2_T3_mT4_P12ihipStream_tbEUlT_E1_NS1_11comp_targetILNS1_3genE2ELNS1_11target_archE906ELNS1_3gpuE6ELNS1_3repE0EEENS1_30default_config_static_selectorELNS0_4arch9wavefront6targetE0EEEvSF_,@function
_ZN7rocprim17ROCPRIM_400000_NS6detail17trampoline_kernelINS0_14default_configENS1_22reduce_config_selectorI18summary_stats_dataIfEEEZNS1_11reduce_implILb1ES3_PS6_S9_S6_23summary_stats_binary_opIfEEE10hipError_tPvRmT1_T2_T3_mT4_P12ihipStream_tbEUlT_E1_NS1_11comp_targetILNS1_3genE2ELNS1_11target_archE906ELNS1_3gpuE6ELNS1_3repE0EEENS1_30default_config_static_selectorELNS0_4arch9wavefront6targetE0EEEvSF_: ; @_ZN7rocprim17ROCPRIM_400000_NS6detail17trampoline_kernelINS0_14default_configENS1_22reduce_config_selectorI18summary_stats_dataIfEEEZNS1_11reduce_implILb1ES3_PS6_S9_S6_23summary_stats_binary_opIfEEE10hipError_tPvRmT1_T2_T3_mT4_P12ihipStream_tbEUlT_E1_NS1_11comp_targetILNS1_3genE2ELNS1_11target_archE906ELNS1_3gpuE6ELNS1_3repE0EEENS1_30default_config_static_selectorELNS0_4arch9wavefront6targetE0EEEvSF_
; %bb.0:
	.section	.rodata,"a",@progbits
	.p2align	6, 0x0
	.amdhsa_kernel _ZN7rocprim17ROCPRIM_400000_NS6detail17trampoline_kernelINS0_14default_configENS1_22reduce_config_selectorI18summary_stats_dataIfEEEZNS1_11reduce_implILb1ES3_PS6_S9_S6_23summary_stats_binary_opIfEEE10hipError_tPvRmT1_T2_T3_mT4_P12ihipStream_tbEUlT_E1_NS1_11comp_targetILNS1_3genE2ELNS1_11target_archE906ELNS1_3gpuE6ELNS1_3repE0EEENS1_30default_config_static_selectorELNS0_4arch9wavefront6targetE0EEEvSF_
		.amdhsa_group_segment_fixed_size 0
		.amdhsa_private_segment_fixed_size 0
		.amdhsa_kernarg_size 64
		.amdhsa_user_sgpr_count 6
		.amdhsa_user_sgpr_private_segment_buffer 1
		.amdhsa_user_sgpr_dispatch_ptr 0
		.amdhsa_user_sgpr_queue_ptr 0
		.amdhsa_user_sgpr_kernarg_segment_ptr 1
		.amdhsa_user_sgpr_dispatch_id 0
		.amdhsa_user_sgpr_flat_scratch_init 0
		.amdhsa_user_sgpr_private_segment_size 0
		.amdhsa_wavefront_size32 1
		.amdhsa_uses_dynamic_stack 0
		.amdhsa_system_sgpr_private_segment_wavefront_offset 0
		.amdhsa_system_sgpr_workgroup_id_x 1
		.amdhsa_system_sgpr_workgroup_id_y 0
		.amdhsa_system_sgpr_workgroup_id_z 0
		.amdhsa_system_sgpr_workgroup_info 0
		.amdhsa_system_vgpr_workitem_id 0
		.amdhsa_next_free_vgpr 1
		.amdhsa_next_free_sgpr 1
		.amdhsa_reserve_vcc 0
		.amdhsa_reserve_flat_scratch 0
		.amdhsa_float_round_mode_32 0
		.amdhsa_float_round_mode_16_64 0
		.amdhsa_float_denorm_mode_32 3
		.amdhsa_float_denorm_mode_16_64 3
		.amdhsa_dx10_clamp 1
		.amdhsa_ieee_mode 1
		.amdhsa_fp16_overflow 0
		.amdhsa_workgroup_processor_mode 1
		.amdhsa_memory_ordered 1
		.amdhsa_forward_progress 1
		.amdhsa_shared_vgpr_count 0
		.amdhsa_exception_fp_ieee_invalid_op 0
		.amdhsa_exception_fp_denorm_src 0
		.amdhsa_exception_fp_ieee_div_zero 0
		.amdhsa_exception_fp_ieee_overflow 0
		.amdhsa_exception_fp_ieee_underflow 0
		.amdhsa_exception_fp_ieee_inexact 0
		.amdhsa_exception_int_div_zero 0
	.end_amdhsa_kernel
	.section	.text._ZN7rocprim17ROCPRIM_400000_NS6detail17trampoline_kernelINS0_14default_configENS1_22reduce_config_selectorI18summary_stats_dataIfEEEZNS1_11reduce_implILb1ES3_PS6_S9_S6_23summary_stats_binary_opIfEEE10hipError_tPvRmT1_T2_T3_mT4_P12ihipStream_tbEUlT_E1_NS1_11comp_targetILNS1_3genE2ELNS1_11target_archE906ELNS1_3gpuE6ELNS1_3repE0EEENS1_30default_config_static_selectorELNS0_4arch9wavefront6targetE0EEEvSF_,"axG",@progbits,_ZN7rocprim17ROCPRIM_400000_NS6detail17trampoline_kernelINS0_14default_configENS1_22reduce_config_selectorI18summary_stats_dataIfEEEZNS1_11reduce_implILb1ES3_PS6_S9_S6_23summary_stats_binary_opIfEEE10hipError_tPvRmT1_T2_T3_mT4_P12ihipStream_tbEUlT_E1_NS1_11comp_targetILNS1_3genE2ELNS1_11target_archE906ELNS1_3gpuE6ELNS1_3repE0EEENS1_30default_config_static_selectorELNS0_4arch9wavefront6targetE0EEEvSF_,comdat
.Lfunc_end13:
	.size	_ZN7rocprim17ROCPRIM_400000_NS6detail17trampoline_kernelINS0_14default_configENS1_22reduce_config_selectorI18summary_stats_dataIfEEEZNS1_11reduce_implILb1ES3_PS6_S9_S6_23summary_stats_binary_opIfEEE10hipError_tPvRmT1_T2_T3_mT4_P12ihipStream_tbEUlT_E1_NS1_11comp_targetILNS1_3genE2ELNS1_11target_archE906ELNS1_3gpuE6ELNS1_3repE0EEENS1_30default_config_static_selectorELNS0_4arch9wavefront6targetE0EEEvSF_, .Lfunc_end13-_ZN7rocprim17ROCPRIM_400000_NS6detail17trampoline_kernelINS0_14default_configENS1_22reduce_config_selectorI18summary_stats_dataIfEEEZNS1_11reduce_implILb1ES3_PS6_S9_S6_23summary_stats_binary_opIfEEE10hipError_tPvRmT1_T2_T3_mT4_P12ihipStream_tbEUlT_E1_NS1_11comp_targetILNS1_3genE2ELNS1_11target_archE906ELNS1_3gpuE6ELNS1_3repE0EEENS1_30default_config_static_selectorELNS0_4arch9wavefront6targetE0EEEvSF_
                                        ; -- End function
	.set _ZN7rocprim17ROCPRIM_400000_NS6detail17trampoline_kernelINS0_14default_configENS1_22reduce_config_selectorI18summary_stats_dataIfEEEZNS1_11reduce_implILb1ES3_PS6_S9_S6_23summary_stats_binary_opIfEEE10hipError_tPvRmT1_T2_T3_mT4_P12ihipStream_tbEUlT_E1_NS1_11comp_targetILNS1_3genE2ELNS1_11target_archE906ELNS1_3gpuE6ELNS1_3repE0EEENS1_30default_config_static_selectorELNS0_4arch9wavefront6targetE0EEEvSF_.num_vgpr, 0
	.set _ZN7rocprim17ROCPRIM_400000_NS6detail17trampoline_kernelINS0_14default_configENS1_22reduce_config_selectorI18summary_stats_dataIfEEEZNS1_11reduce_implILb1ES3_PS6_S9_S6_23summary_stats_binary_opIfEEE10hipError_tPvRmT1_T2_T3_mT4_P12ihipStream_tbEUlT_E1_NS1_11comp_targetILNS1_3genE2ELNS1_11target_archE906ELNS1_3gpuE6ELNS1_3repE0EEENS1_30default_config_static_selectorELNS0_4arch9wavefront6targetE0EEEvSF_.num_agpr, 0
	.set _ZN7rocprim17ROCPRIM_400000_NS6detail17trampoline_kernelINS0_14default_configENS1_22reduce_config_selectorI18summary_stats_dataIfEEEZNS1_11reduce_implILb1ES3_PS6_S9_S6_23summary_stats_binary_opIfEEE10hipError_tPvRmT1_T2_T3_mT4_P12ihipStream_tbEUlT_E1_NS1_11comp_targetILNS1_3genE2ELNS1_11target_archE906ELNS1_3gpuE6ELNS1_3repE0EEENS1_30default_config_static_selectorELNS0_4arch9wavefront6targetE0EEEvSF_.numbered_sgpr, 0
	.set _ZN7rocprim17ROCPRIM_400000_NS6detail17trampoline_kernelINS0_14default_configENS1_22reduce_config_selectorI18summary_stats_dataIfEEEZNS1_11reduce_implILb1ES3_PS6_S9_S6_23summary_stats_binary_opIfEEE10hipError_tPvRmT1_T2_T3_mT4_P12ihipStream_tbEUlT_E1_NS1_11comp_targetILNS1_3genE2ELNS1_11target_archE906ELNS1_3gpuE6ELNS1_3repE0EEENS1_30default_config_static_selectorELNS0_4arch9wavefront6targetE0EEEvSF_.num_named_barrier, 0
	.set _ZN7rocprim17ROCPRIM_400000_NS6detail17trampoline_kernelINS0_14default_configENS1_22reduce_config_selectorI18summary_stats_dataIfEEEZNS1_11reduce_implILb1ES3_PS6_S9_S6_23summary_stats_binary_opIfEEE10hipError_tPvRmT1_T2_T3_mT4_P12ihipStream_tbEUlT_E1_NS1_11comp_targetILNS1_3genE2ELNS1_11target_archE906ELNS1_3gpuE6ELNS1_3repE0EEENS1_30default_config_static_selectorELNS0_4arch9wavefront6targetE0EEEvSF_.private_seg_size, 0
	.set _ZN7rocprim17ROCPRIM_400000_NS6detail17trampoline_kernelINS0_14default_configENS1_22reduce_config_selectorI18summary_stats_dataIfEEEZNS1_11reduce_implILb1ES3_PS6_S9_S6_23summary_stats_binary_opIfEEE10hipError_tPvRmT1_T2_T3_mT4_P12ihipStream_tbEUlT_E1_NS1_11comp_targetILNS1_3genE2ELNS1_11target_archE906ELNS1_3gpuE6ELNS1_3repE0EEENS1_30default_config_static_selectorELNS0_4arch9wavefront6targetE0EEEvSF_.uses_vcc, 0
	.set _ZN7rocprim17ROCPRIM_400000_NS6detail17trampoline_kernelINS0_14default_configENS1_22reduce_config_selectorI18summary_stats_dataIfEEEZNS1_11reduce_implILb1ES3_PS6_S9_S6_23summary_stats_binary_opIfEEE10hipError_tPvRmT1_T2_T3_mT4_P12ihipStream_tbEUlT_E1_NS1_11comp_targetILNS1_3genE2ELNS1_11target_archE906ELNS1_3gpuE6ELNS1_3repE0EEENS1_30default_config_static_selectorELNS0_4arch9wavefront6targetE0EEEvSF_.uses_flat_scratch, 0
	.set _ZN7rocprim17ROCPRIM_400000_NS6detail17trampoline_kernelINS0_14default_configENS1_22reduce_config_selectorI18summary_stats_dataIfEEEZNS1_11reduce_implILb1ES3_PS6_S9_S6_23summary_stats_binary_opIfEEE10hipError_tPvRmT1_T2_T3_mT4_P12ihipStream_tbEUlT_E1_NS1_11comp_targetILNS1_3genE2ELNS1_11target_archE906ELNS1_3gpuE6ELNS1_3repE0EEENS1_30default_config_static_selectorELNS0_4arch9wavefront6targetE0EEEvSF_.has_dyn_sized_stack, 0
	.set _ZN7rocprim17ROCPRIM_400000_NS6detail17trampoline_kernelINS0_14default_configENS1_22reduce_config_selectorI18summary_stats_dataIfEEEZNS1_11reduce_implILb1ES3_PS6_S9_S6_23summary_stats_binary_opIfEEE10hipError_tPvRmT1_T2_T3_mT4_P12ihipStream_tbEUlT_E1_NS1_11comp_targetILNS1_3genE2ELNS1_11target_archE906ELNS1_3gpuE6ELNS1_3repE0EEENS1_30default_config_static_selectorELNS0_4arch9wavefront6targetE0EEEvSF_.has_recursion, 0
	.set _ZN7rocprim17ROCPRIM_400000_NS6detail17trampoline_kernelINS0_14default_configENS1_22reduce_config_selectorI18summary_stats_dataIfEEEZNS1_11reduce_implILb1ES3_PS6_S9_S6_23summary_stats_binary_opIfEEE10hipError_tPvRmT1_T2_T3_mT4_P12ihipStream_tbEUlT_E1_NS1_11comp_targetILNS1_3genE2ELNS1_11target_archE906ELNS1_3gpuE6ELNS1_3repE0EEENS1_30default_config_static_selectorELNS0_4arch9wavefront6targetE0EEEvSF_.has_indirect_call, 0
	.section	.AMDGPU.csdata,"",@progbits
; Kernel info:
; codeLenInByte = 0
; TotalNumSgprs: 0
; NumVgprs: 0
; ScratchSize: 0
; MemoryBound: 0
; FloatMode: 240
; IeeeMode: 1
; LDSByteSize: 0 bytes/workgroup (compile time only)
; SGPRBlocks: 0
; VGPRBlocks: 0
; NumSGPRsForWavesPerEU: 1
; NumVGPRsForWavesPerEU: 1
; Occupancy: 16
; WaveLimiterHint : 0
; COMPUTE_PGM_RSRC2:SCRATCH_EN: 0
; COMPUTE_PGM_RSRC2:USER_SGPR: 6
; COMPUTE_PGM_RSRC2:TRAP_HANDLER: 0
; COMPUTE_PGM_RSRC2:TGID_X_EN: 1
; COMPUTE_PGM_RSRC2:TGID_Y_EN: 0
; COMPUTE_PGM_RSRC2:TGID_Z_EN: 0
; COMPUTE_PGM_RSRC2:TIDIG_COMP_CNT: 0
	.section	.text._ZN7rocprim17ROCPRIM_400000_NS6detail17trampoline_kernelINS0_14default_configENS1_22reduce_config_selectorI18summary_stats_dataIfEEEZNS1_11reduce_implILb1ES3_PS6_S9_S6_23summary_stats_binary_opIfEEE10hipError_tPvRmT1_T2_T3_mT4_P12ihipStream_tbEUlT_E1_NS1_11comp_targetILNS1_3genE10ELNS1_11target_archE1201ELNS1_3gpuE5ELNS1_3repE0EEENS1_30default_config_static_selectorELNS0_4arch9wavefront6targetE0EEEvSF_,"axG",@progbits,_ZN7rocprim17ROCPRIM_400000_NS6detail17trampoline_kernelINS0_14default_configENS1_22reduce_config_selectorI18summary_stats_dataIfEEEZNS1_11reduce_implILb1ES3_PS6_S9_S6_23summary_stats_binary_opIfEEE10hipError_tPvRmT1_T2_T3_mT4_P12ihipStream_tbEUlT_E1_NS1_11comp_targetILNS1_3genE10ELNS1_11target_archE1201ELNS1_3gpuE5ELNS1_3repE0EEENS1_30default_config_static_selectorELNS0_4arch9wavefront6targetE0EEEvSF_,comdat
	.protected	_ZN7rocprim17ROCPRIM_400000_NS6detail17trampoline_kernelINS0_14default_configENS1_22reduce_config_selectorI18summary_stats_dataIfEEEZNS1_11reduce_implILb1ES3_PS6_S9_S6_23summary_stats_binary_opIfEEE10hipError_tPvRmT1_T2_T3_mT4_P12ihipStream_tbEUlT_E1_NS1_11comp_targetILNS1_3genE10ELNS1_11target_archE1201ELNS1_3gpuE5ELNS1_3repE0EEENS1_30default_config_static_selectorELNS0_4arch9wavefront6targetE0EEEvSF_ ; -- Begin function _ZN7rocprim17ROCPRIM_400000_NS6detail17trampoline_kernelINS0_14default_configENS1_22reduce_config_selectorI18summary_stats_dataIfEEEZNS1_11reduce_implILb1ES3_PS6_S9_S6_23summary_stats_binary_opIfEEE10hipError_tPvRmT1_T2_T3_mT4_P12ihipStream_tbEUlT_E1_NS1_11comp_targetILNS1_3genE10ELNS1_11target_archE1201ELNS1_3gpuE5ELNS1_3repE0EEENS1_30default_config_static_selectorELNS0_4arch9wavefront6targetE0EEEvSF_
	.globl	_ZN7rocprim17ROCPRIM_400000_NS6detail17trampoline_kernelINS0_14default_configENS1_22reduce_config_selectorI18summary_stats_dataIfEEEZNS1_11reduce_implILb1ES3_PS6_S9_S6_23summary_stats_binary_opIfEEE10hipError_tPvRmT1_T2_T3_mT4_P12ihipStream_tbEUlT_E1_NS1_11comp_targetILNS1_3genE10ELNS1_11target_archE1201ELNS1_3gpuE5ELNS1_3repE0EEENS1_30default_config_static_selectorELNS0_4arch9wavefront6targetE0EEEvSF_
	.p2align	8
	.type	_ZN7rocprim17ROCPRIM_400000_NS6detail17trampoline_kernelINS0_14default_configENS1_22reduce_config_selectorI18summary_stats_dataIfEEEZNS1_11reduce_implILb1ES3_PS6_S9_S6_23summary_stats_binary_opIfEEE10hipError_tPvRmT1_T2_T3_mT4_P12ihipStream_tbEUlT_E1_NS1_11comp_targetILNS1_3genE10ELNS1_11target_archE1201ELNS1_3gpuE5ELNS1_3repE0EEENS1_30default_config_static_selectorELNS0_4arch9wavefront6targetE0EEEvSF_,@function
_ZN7rocprim17ROCPRIM_400000_NS6detail17trampoline_kernelINS0_14default_configENS1_22reduce_config_selectorI18summary_stats_dataIfEEEZNS1_11reduce_implILb1ES3_PS6_S9_S6_23summary_stats_binary_opIfEEE10hipError_tPvRmT1_T2_T3_mT4_P12ihipStream_tbEUlT_E1_NS1_11comp_targetILNS1_3genE10ELNS1_11target_archE1201ELNS1_3gpuE5ELNS1_3repE0EEENS1_30default_config_static_selectorELNS0_4arch9wavefront6targetE0EEEvSF_: ; @_ZN7rocprim17ROCPRIM_400000_NS6detail17trampoline_kernelINS0_14default_configENS1_22reduce_config_selectorI18summary_stats_dataIfEEEZNS1_11reduce_implILb1ES3_PS6_S9_S6_23summary_stats_binary_opIfEEE10hipError_tPvRmT1_T2_T3_mT4_P12ihipStream_tbEUlT_E1_NS1_11comp_targetILNS1_3genE10ELNS1_11target_archE1201ELNS1_3gpuE5ELNS1_3repE0EEENS1_30default_config_static_selectorELNS0_4arch9wavefront6targetE0EEEvSF_
; %bb.0:
	.section	.rodata,"a",@progbits
	.p2align	6, 0x0
	.amdhsa_kernel _ZN7rocprim17ROCPRIM_400000_NS6detail17trampoline_kernelINS0_14default_configENS1_22reduce_config_selectorI18summary_stats_dataIfEEEZNS1_11reduce_implILb1ES3_PS6_S9_S6_23summary_stats_binary_opIfEEE10hipError_tPvRmT1_T2_T3_mT4_P12ihipStream_tbEUlT_E1_NS1_11comp_targetILNS1_3genE10ELNS1_11target_archE1201ELNS1_3gpuE5ELNS1_3repE0EEENS1_30default_config_static_selectorELNS0_4arch9wavefront6targetE0EEEvSF_
		.amdhsa_group_segment_fixed_size 0
		.amdhsa_private_segment_fixed_size 0
		.amdhsa_kernarg_size 64
		.amdhsa_user_sgpr_count 6
		.amdhsa_user_sgpr_private_segment_buffer 1
		.amdhsa_user_sgpr_dispatch_ptr 0
		.amdhsa_user_sgpr_queue_ptr 0
		.amdhsa_user_sgpr_kernarg_segment_ptr 1
		.amdhsa_user_sgpr_dispatch_id 0
		.amdhsa_user_sgpr_flat_scratch_init 0
		.amdhsa_user_sgpr_private_segment_size 0
		.amdhsa_wavefront_size32 1
		.amdhsa_uses_dynamic_stack 0
		.amdhsa_system_sgpr_private_segment_wavefront_offset 0
		.amdhsa_system_sgpr_workgroup_id_x 1
		.amdhsa_system_sgpr_workgroup_id_y 0
		.amdhsa_system_sgpr_workgroup_id_z 0
		.amdhsa_system_sgpr_workgroup_info 0
		.amdhsa_system_vgpr_workitem_id 0
		.amdhsa_next_free_vgpr 1
		.amdhsa_next_free_sgpr 1
		.amdhsa_reserve_vcc 0
		.amdhsa_reserve_flat_scratch 0
		.amdhsa_float_round_mode_32 0
		.amdhsa_float_round_mode_16_64 0
		.amdhsa_float_denorm_mode_32 3
		.amdhsa_float_denorm_mode_16_64 3
		.amdhsa_dx10_clamp 1
		.amdhsa_ieee_mode 1
		.amdhsa_fp16_overflow 0
		.amdhsa_workgroup_processor_mode 1
		.amdhsa_memory_ordered 1
		.amdhsa_forward_progress 1
		.amdhsa_shared_vgpr_count 0
		.amdhsa_exception_fp_ieee_invalid_op 0
		.amdhsa_exception_fp_denorm_src 0
		.amdhsa_exception_fp_ieee_div_zero 0
		.amdhsa_exception_fp_ieee_overflow 0
		.amdhsa_exception_fp_ieee_underflow 0
		.amdhsa_exception_fp_ieee_inexact 0
		.amdhsa_exception_int_div_zero 0
	.end_amdhsa_kernel
	.section	.text._ZN7rocprim17ROCPRIM_400000_NS6detail17trampoline_kernelINS0_14default_configENS1_22reduce_config_selectorI18summary_stats_dataIfEEEZNS1_11reduce_implILb1ES3_PS6_S9_S6_23summary_stats_binary_opIfEEE10hipError_tPvRmT1_T2_T3_mT4_P12ihipStream_tbEUlT_E1_NS1_11comp_targetILNS1_3genE10ELNS1_11target_archE1201ELNS1_3gpuE5ELNS1_3repE0EEENS1_30default_config_static_selectorELNS0_4arch9wavefront6targetE0EEEvSF_,"axG",@progbits,_ZN7rocprim17ROCPRIM_400000_NS6detail17trampoline_kernelINS0_14default_configENS1_22reduce_config_selectorI18summary_stats_dataIfEEEZNS1_11reduce_implILb1ES3_PS6_S9_S6_23summary_stats_binary_opIfEEE10hipError_tPvRmT1_T2_T3_mT4_P12ihipStream_tbEUlT_E1_NS1_11comp_targetILNS1_3genE10ELNS1_11target_archE1201ELNS1_3gpuE5ELNS1_3repE0EEENS1_30default_config_static_selectorELNS0_4arch9wavefront6targetE0EEEvSF_,comdat
.Lfunc_end14:
	.size	_ZN7rocprim17ROCPRIM_400000_NS6detail17trampoline_kernelINS0_14default_configENS1_22reduce_config_selectorI18summary_stats_dataIfEEEZNS1_11reduce_implILb1ES3_PS6_S9_S6_23summary_stats_binary_opIfEEE10hipError_tPvRmT1_T2_T3_mT4_P12ihipStream_tbEUlT_E1_NS1_11comp_targetILNS1_3genE10ELNS1_11target_archE1201ELNS1_3gpuE5ELNS1_3repE0EEENS1_30default_config_static_selectorELNS0_4arch9wavefront6targetE0EEEvSF_, .Lfunc_end14-_ZN7rocprim17ROCPRIM_400000_NS6detail17trampoline_kernelINS0_14default_configENS1_22reduce_config_selectorI18summary_stats_dataIfEEEZNS1_11reduce_implILb1ES3_PS6_S9_S6_23summary_stats_binary_opIfEEE10hipError_tPvRmT1_T2_T3_mT4_P12ihipStream_tbEUlT_E1_NS1_11comp_targetILNS1_3genE10ELNS1_11target_archE1201ELNS1_3gpuE5ELNS1_3repE0EEENS1_30default_config_static_selectorELNS0_4arch9wavefront6targetE0EEEvSF_
                                        ; -- End function
	.set _ZN7rocprim17ROCPRIM_400000_NS6detail17trampoline_kernelINS0_14default_configENS1_22reduce_config_selectorI18summary_stats_dataIfEEEZNS1_11reduce_implILb1ES3_PS6_S9_S6_23summary_stats_binary_opIfEEE10hipError_tPvRmT1_T2_T3_mT4_P12ihipStream_tbEUlT_E1_NS1_11comp_targetILNS1_3genE10ELNS1_11target_archE1201ELNS1_3gpuE5ELNS1_3repE0EEENS1_30default_config_static_selectorELNS0_4arch9wavefront6targetE0EEEvSF_.num_vgpr, 0
	.set _ZN7rocprim17ROCPRIM_400000_NS6detail17trampoline_kernelINS0_14default_configENS1_22reduce_config_selectorI18summary_stats_dataIfEEEZNS1_11reduce_implILb1ES3_PS6_S9_S6_23summary_stats_binary_opIfEEE10hipError_tPvRmT1_T2_T3_mT4_P12ihipStream_tbEUlT_E1_NS1_11comp_targetILNS1_3genE10ELNS1_11target_archE1201ELNS1_3gpuE5ELNS1_3repE0EEENS1_30default_config_static_selectorELNS0_4arch9wavefront6targetE0EEEvSF_.num_agpr, 0
	.set _ZN7rocprim17ROCPRIM_400000_NS6detail17trampoline_kernelINS0_14default_configENS1_22reduce_config_selectorI18summary_stats_dataIfEEEZNS1_11reduce_implILb1ES3_PS6_S9_S6_23summary_stats_binary_opIfEEE10hipError_tPvRmT1_T2_T3_mT4_P12ihipStream_tbEUlT_E1_NS1_11comp_targetILNS1_3genE10ELNS1_11target_archE1201ELNS1_3gpuE5ELNS1_3repE0EEENS1_30default_config_static_selectorELNS0_4arch9wavefront6targetE0EEEvSF_.numbered_sgpr, 0
	.set _ZN7rocprim17ROCPRIM_400000_NS6detail17trampoline_kernelINS0_14default_configENS1_22reduce_config_selectorI18summary_stats_dataIfEEEZNS1_11reduce_implILb1ES3_PS6_S9_S6_23summary_stats_binary_opIfEEE10hipError_tPvRmT1_T2_T3_mT4_P12ihipStream_tbEUlT_E1_NS1_11comp_targetILNS1_3genE10ELNS1_11target_archE1201ELNS1_3gpuE5ELNS1_3repE0EEENS1_30default_config_static_selectorELNS0_4arch9wavefront6targetE0EEEvSF_.num_named_barrier, 0
	.set _ZN7rocprim17ROCPRIM_400000_NS6detail17trampoline_kernelINS0_14default_configENS1_22reduce_config_selectorI18summary_stats_dataIfEEEZNS1_11reduce_implILb1ES3_PS6_S9_S6_23summary_stats_binary_opIfEEE10hipError_tPvRmT1_T2_T3_mT4_P12ihipStream_tbEUlT_E1_NS1_11comp_targetILNS1_3genE10ELNS1_11target_archE1201ELNS1_3gpuE5ELNS1_3repE0EEENS1_30default_config_static_selectorELNS0_4arch9wavefront6targetE0EEEvSF_.private_seg_size, 0
	.set _ZN7rocprim17ROCPRIM_400000_NS6detail17trampoline_kernelINS0_14default_configENS1_22reduce_config_selectorI18summary_stats_dataIfEEEZNS1_11reduce_implILb1ES3_PS6_S9_S6_23summary_stats_binary_opIfEEE10hipError_tPvRmT1_T2_T3_mT4_P12ihipStream_tbEUlT_E1_NS1_11comp_targetILNS1_3genE10ELNS1_11target_archE1201ELNS1_3gpuE5ELNS1_3repE0EEENS1_30default_config_static_selectorELNS0_4arch9wavefront6targetE0EEEvSF_.uses_vcc, 0
	.set _ZN7rocprim17ROCPRIM_400000_NS6detail17trampoline_kernelINS0_14default_configENS1_22reduce_config_selectorI18summary_stats_dataIfEEEZNS1_11reduce_implILb1ES3_PS6_S9_S6_23summary_stats_binary_opIfEEE10hipError_tPvRmT1_T2_T3_mT4_P12ihipStream_tbEUlT_E1_NS1_11comp_targetILNS1_3genE10ELNS1_11target_archE1201ELNS1_3gpuE5ELNS1_3repE0EEENS1_30default_config_static_selectorELNS0_4arch9wavefront6targetE0EEEvSF_.uses_flat_scratch, 0
	.set _ZN7rocprim17ROCPRIM_400000_NS6detail17trampoline_kernelINS0_14default_configENS1_22reduce_config_selectorI18summary_stats_dataIfEEEZNS1_11reduce_implILb1ES3_PS6_S9_S6_23summary_stats_binary_opIfEEE10hipError_tPvRmT1_T2_T3_mT4_P12ihipStream_tbEUlT_E1_NS1_11comp_targetILNS1_3genE10ELNS1_11target_archE1201ELNS1_3gpuE5ELNS1_3repE0EEENS1_30default_config_static_selectorELNS0_4arch9wavefront6targetE0EEEvSF_.has_dyn_sized_stack, 0
	.set _ZN7rocprim17ROCPRIM_400000_NS6detail17trampoline_kernelINS0_14default_configENS1_22reduce_config_selectorI18summary_stats_dataIfEEEZNS1_11reduce_implILb1ES3_PS6_S9_S6_23summary_stats_binary_opIfEEE10hipError_tPvRmT1_T2_T3_mT4_P12ihipStream_tbEUlT_E1_NS1_11comp_targetILNS1_3genE10ELNS1_11target_archE1201ELNS1_3gpuE5ELNS1_3repE0EEENS1_30default_config_static_selectorELNS0_4arch9wavefront6targetE0EEEvSF_.has_recursion, 0
	.set _ZN7rocprim17ROCPRIM_400000_NS6detail17trampoline_kernelINS0_14default_configENS1_22reduce_config_selectorI18summary_stats_dataIfEEEZNS1_11reduce_implILb1ES3_PS6_S9_S6_23summary_stats_binary_opIfEEE10hipError_tPvRmT1_T2_T3_mT4_P12ihipStream_tbEUlT_E1_NS1_11comp_targetILNS1_3genE10ELNS1_11target_archE1201ELNS1_3gpuE5ELNS1_3repE0EEENS1_30default_config_static_selectorELNS0_4arch9wavefront6targetE0EEEvSF_.has_indirect_call, 0
	.section	.AMDGPU.csdata,"",@progbits
; Kernel info:
; codeLenInByte = 0
; TotalNumSgprs: 0
; NumVgprs: 0
; ScratchSize: 0
; MemoryBound: 0
; FloatMode: 240
; IeeeMode: 1
; LDSByteSize: 0 bytes/workgroup (compile time only)
; SGPRBlocks: 0
; VGPRBlocks: 0
; NumSGPRsForWavesPerEU: 1
; NumVGPRsForWavesPerEU: 1
; Occupancy: 16
; WaveLimiterHint : 0
; COMPUTE_PGM_RSRC2:SCRATCH_EN: 0
; COMPUTE_PGM_RSRC2:USER_SGPR: 6
; COMPUTE_PGM_RSRC2:TRAP_HANDLER: 0
; COMPUTE_PGM_RSRC2:TGID_X_EN: 1
; COMPUTE_PGM_RSRC2:TGID_Y_EN: 0
; COMPUTE_PGM_RSRC2:TGID_Z_EN: 0
; COMPUTE_PGM_RSRC2:TIDIG_COMP_CNT: 0
	.section	.text._ZN7rocprim17ROCPRIM_400000_NS6detail17trampoline_kernelINS0_14default_configENS1_22reduce_config_selectorI18summary_stats_dataIfEEEZNS1_11reduce_implILb1ES3_PS6_S9_S6_23summary_stats_binary_opIfEEE10hipError_tPvRmT1_T2_T3_mT4_P12ihipStream_tbEUlT_E1_NS1_11comp_targetILNS1_3genE10ELNS1_11target_archE1200ELNS1_3gpuE4ELNS1_3repE0EEENS1_30default_config_static_selectorELNS0_4arch9wavefront6targetE0EEEvSF_,"axG",@progbits,_ZN7rocprim17ROCPRIM_400000_NS6detail17trampoline_kernelINS0_14default_configENS1_22reduce_config_selectorI18summary_stats_dataIfEEEZNS1_11reduce_implILb1ES3_PS6_S9_S6_23summary_stats_binary_opIfEEE10hipError_tPvRmT1_T2_T3_mT4_P12ihipStream_tbEUlT_E1_NS1_11comp_targetILNS1_3genE10ELNS1_11target_archE1200ELNS1_3gpuE4ELNS1_3repE0EEENS1_30default_config_static_selectorELNS0_4arch9wavefront6targetE0EEEvSF_,comdat
	.protected	_ZN7rocprim17ROCPRIM_400000_NS6detail17trampoline_kernelINS0_14default_configENS1_22reduce_config_selectorI18summary_stats_dataIfEEEZNS1_11reduce_implILb1ES3_PS6_S9_S6_23summary_stats_binary_opIfEEE10hipError_tPvRmT1_T2_T3_mT4_P12ihipStream_tbEUlT_E1_NS1_11comp_targetILNS1_3genE10ELNS1_11target_archE1200ELNS1_3gpuE4ELNS1_3repE0EEENS1_30default_config_static_selectorELNS0_4arch9wavefront6targetE0EEEvSF_ ; -- Begin function _ZN7rocprim17ROCPRIM_400000_NS6detail17trampoline_kernelINS0_14default_configENS1_22reduce_config_selectorI18summary_stats_dataIfEEEZNS1_11reduce_implILb1ES3_PS6_S9_S6_23summary_stats_binary_opIfEEE10hipError_tPvRmT1_T2_T3_mT4_P12ihipStream_tbEUlT_E1_NS1_11comp_targetILNS1_3genE10ELNS1_11target_archE1200ELNS1_3gpuE4ELNS1_3repE0EEENS1_30default_config_static_selectorELNS0_4arch9wavefront6targetE0EEEvSF_
	.globl	_ZN7rocprim17ROCPRIM_400000_NS6detail17trampoline_kernelINS0_14default_configENS1_22reduce_config_selectorI18summary_stats_dataIfEEEZNS1_11reduce_implILb1ES3_PS6_S9_S6_23summary_stats_binary_opIfEEE10hipError_tPvRmT1_T2_T3_mT4_P12ihipStream_tbEUlT_E1_NS1_11comp_targetILNS1_3genE10ELNS1_11target_archE1200ELNS1_3gpuE4ELNS1_3repE0EEENS1_30default_config_static_selectorELNS0_4arch9wavefront6targetE0EEEvSF_
	.p2align	8
	.type	_ZN7rocprim17ROCPRIM_400000_NS6detail17trampoline_kernelINS0_14default_configENS1_22reduce_config_selectorI18summary_stats_dataIfEEEZNS1_11reduce_implILb1ES3_PS6_S9_S6_23summary_stats_binary_opIfEEE10hipError_tPvRmT1_T2_T3_mT4_P12ihipStream_tbEUlT_E1_NS1_11comp_targetILNS1_3genE10ELNS1_11target_archE1200ELNS1_3gpuE4ELNS1_3repE0EEENS1_30default_config_static_selectorELNS0_4arch9wavefront6targetE0EEEvSF_,@function
_ZN7rocprim17ROCPRIM_400000_NS6detail17trampoline_kernelINS0_14default_configENS1_22reduce_config_selectorI18summary_stats_dataIfEEEZNS1_11reduce_implILb1ES3_PS6_S9_S6_23summary_stats_binary_opIfEEE10hipError_tPvRmT1_T2_T3_mT4_P12ihipStream_tbEUlT_E1_NS1_11comp_targetILNS1_3genE10ELNS1_11target_archE1200ELNS1_3gpuE4ELNS1_3repE0EEENS1_30default_config_static_selectorELNS0_4arch9wavefront6targetE0EEEvSF_: ; @_ZN7rocprim17ROCPRIM_400000_NS6detail17trampoline_kernelINS0_14default_configENS1_22reduce_config_selectorI18summary_stats_dataIfEEEZNS1_11reduce_implILb1ES3_PS6_S9_S6_23summary_stats_binary_opIfEEE10hipError_tPvRmT1_T2_T3_mT4_P12ihipStream_tbEUlT_E1_NS1_11comp_targetILNS1_3genE10ELNS1_11target_archE1200ELNS1_3gpuE4ELNS1_3repE0EEENS1_30default_config_static_selectorELNS0_4arch9wavefront6targetE0EEEvSF_
; %bb.0:
	.section	.rodata,"a",@progbits
	.p2align	6, 0x0
	.amdhsa_kernel _ZN7rocprim17ROCPRIM_400000_NS6detail17trampoline_kernelINS0_14default_configENS1_22reduce_config_selectorI18summary_stats_dataIfEEEZNS1_11reduce_implILb1ES3_PS6_S9_S6_23summary_stats_binary_opIfEEE10hipError_tPvRmT1_T2_T3_mT4_P12ihipStream_tbEUlT_E1_NS1_11comp_targetILNS1_3genE10ELNS1_11target_archE1200ELNS1_3gpuE4ELNS1_3repE0EEENS1_30default_config_static_selectorELNS0_4arch9wavefront6targetE0EEEvSF_
		.amdhsa_group_segment_fixed_size 0
		.amdhsa_private_segment_fixed_size 0
		.amdhsa_kernarg_size 64
		.amdhsa_user_sgpr_count 6
		.amdhsa_user_sgpr_private_segment_buffer 1
		.amdhsa_user_sgpr_dispatch_ptr 0
		.amdhsa_user_sgpr_queue_ptr 0
		.amdhsa_user_sgpr_kernarg_segment_ptr 1
		.amdhsa_user_sgpr_dispatch_id 0
		.amdhsa_user_sgpr_flat_scratch_init 0
		.amdhsa_user_sgpr_private_segment_size 0
		.amdhsa_wavefront_size32 1
		.amdhsa_uses_dynamic_stack 0
		.amdhsa_system_sgpr_private_segment_wavefront_offset 0
		.amdhsa_system_sgpr_workgroup_id_x 1
		.amdhsa_system_sgpr_workgroup_id_y 0
		.amdhsa_system_sgpr_workgroup_id_z 0
		.amdhsa_system_sgpr_workgroup_info 0
		.amdhsa_system_vgpr_workitem_id 0
		.amdhsa_next_free_vgpr 1
		.amdhsa_next_free_sgpr 1
		.amdhsa_reserve_vcc 0
		.amdhsa_reserve_flat_scratch 0
		.amdhsa_float_round_mode_32 0
		.amdhsa_float_round_mode_16_64 0
		.amdhsa_float_denorm_mode_32 3
		.amdhsa_float_denorm_mode_16_64 3
		.amdhsa_dx10_clamp 1
		.amdhsa_ieee_mode 1
		.amdhsa_fp16_overflow 0
		.amdhsa_workgroup_processor_mode 1
		.amdhsa_memory_ordered 1
		.amdhsa_forward_progress 1
		.amdhsa_shared_vgpr_count 0
		.amdhsa_exception_fp_ieee_invalid_op 0
		.amdhsa_exception_fp_denorm_src 0
		.amdhsa_exception_fp_ieee_div_zero 0
		.amdhsa_exception_fp_ieee_overflow 0
		.amdhsa_exception_fp_ieee_underflow 0
		.amdhsa_exception_fp_ieee_inexact 0
		.amdhsa_exception_int_div_zero 0
	.end_amdhsa_kernel
	.section	.text._ZN7rocprim17ROCPRIM_400000_NS6detail17trampoline_kernelINS0_14default_configENS1_22reduce_config_selectorI18summary_stats_dataIfEEEZNS1_11reduce_implILb1ES3_PS6_S9_S6_23summary_stats_binary_opIfEEE10hipError_tPvRmT1_T2_T3_mT4_P12ihipStream_tbEUlT_E1_NS1_11comp_targetILNS1_3genE10ELNS1_11target_archE1200ELNS1_3gpuE4ELNS1_3repE0EEENS1_30default_config_static_selectorELNS0_4arch9wavefront6targetE0EEEvSF_,"axG",@progbits,_ZN7rocprim17ROCPRIM_400000_NS6detail17trampoline_kernelINS0_14default_configENS1_22reduce_config_selectorI18summary_stats_dataIfEEEZNS1_11reduce_implILb1ES3_PS6_S9_S6_23summary_stats_binary_opIfEEE10hipError_tPvRmT1_T2_T3_mT4_P12ihipStream_tbEUlT_E1_NS1_11comp_targetILNS1_3genE10ELNS1_11target_archE1200ELNS1_3gpuE4ELNS1_3repE0EEENS1_30default_config_static_selectorELNS0_4arch9wavefront6targetE0EEEvSF_,comdat
.Lfunc_end15:
	.size	_ZN7rocprim17ROCPRIM_400000_NS6detail17trampoline_kernelINS0_14default_configENS1_22reduce_config_selectorI18summary_stats_dataIfEEEZNS1_11reduce_implILb1ES3_PS6_S9_S6_23summary_stats_binary_opIfEEE10hipError_tPvRmT1_T2_T3_mT4_P12ihipStream_tbEUlT_E1_NS1_11comp_targetILNS1_3genE10ELNS1_11target_archE1200ELNS1_3gpuE4ELNS1_3repE0EEENS1_30default_config_static_selectorELNS0_4arch9wavefront6targetE0EEEvSF_, .Lfunc_end15-_ZN7rocprim17ROCPRIM_400000_NS6detail17trampoline_kernelINS0_14default_configENS1_22reduce_config_selectorI18summary_stats_dataIfEEEZNS1_11reduce_implILb1ES3_PS6_S9_S6_23summary_stats_binary_opIfEEE10hipError_tPvRmT1_T2_T3_mT4_P12ihipStream_tbEUlT_E1_NS1_11comp_targetILNS1_3genE10ELNS1_11target_archE1200ELNS1_3gpuE4ELNS1_3repE0EEENS1_30default_config_static_selectorELNS0_4arch9wavefront6targetE0EEEvSF_
                                        ; -- End function
	.set _ZN7rocprim17ROCPRIM_400000_NS6detail17trampoline_kernelINS0_14default_configENS1_22reduce_config_selectorI18summary_stats_dataIfEEEZNS1_11reduce_implILb1ES3_PS6_S9_S6_23summary_stats_binary_opIfEEE10hipError_tPvRmT1_T2_T3_mT4_P12ihipStream_tbEUlT_E1_NS1_11comp_targetILNS1_3genE10ELNS1_11target_archE1200ELNS1_3gpuE4ELNS1_3repE0EEENS1_30default_config_static_selectorELNS0_4arch9wavefront6targetE0EEEvSF_.num_vgpr, 0
	.set _ZN7rocprim17ROCPRIM_400000_NS6detail17trampoline_kernelINS0_14default_configENS1_22reduce_config_selectorI18summary_stats_dataIfEEEZNS1_11reduce_implILb1ES3_PS6_S9_S6_23summary_stats_binary_opIfEEE10hipError_tPvRmT1_T2_T3_mT4_P12ihipStream_tbEUlT_E1_NS1_11comp_targetILNS1_3genE10ELNS1_11target_archE1200ELNS1_3gpuE4ELNS1_3repE0EEENS1_30default_config_static_selectorELNS0_4arch9wavefront6targetE0EEEvSF_.num_agpr, 0
	.set _ZN7rocprim17ROCPRIM_400000_NS6detail17trampoline_kernelINS0_14default_configENS1_22reduce_config_selectorI18summary_stats_dataIfEEEZNS1_11reduce_implILb1ES3_PS6_S9_S6_23summary_stats_binary_opIfEEE10hipError_tPvRmT1_T2_T3_mT4_P12ihipStream_tbEUlT_E1_NS1_11comp_targetILNS1_3genE10ELNS1_11target_archE1200ELNS1_3gpuE4ELNS1_3repE0EEENS1_30default_config_static_selectorELNS0_4arch9wavefront6targetE0EEEvSF_.numbered_sgpr, 0
	.set _ZN7rocprim17ROCPRIM_400000_NS6detail17trampoline_kernelINS0_14default_configENS1_22reduce_config_selectorI18summary_stats_dataIfEEEZNS1_11reduce_implILb1ES3_PS6_S9_S6_23summary_stats_binary_opIfEEE10hipError_tPvRmT1_T2_T3_mT4_P12ihipStream_tbEUlT_E1_NS1_11comp_targetILNS1_3genE10ELNS1_11target_archE1200ELNS1_3gpuE4ELNS1_3repE0EEENS1_30default_config_static_selectorELNS0_4arch9wavefront6targetE0EEEvSF_.num_named_barrier, 0
	.set _ZN7rocprim17ROCPRIM_400000_NS6detail17trampoline_kernelINS0_14default_configENS1_22reduce_config_selectorI18summary_stats_dataIfEEEZNS1_11reduce_implILb1ES3_PS6_S9_S6_23summary_stats_binary_opIfEEE10hipError_tPvRmT1_T2_T3_mT4_P12ihipStream_tbEUlT_E1_NS1_11comp_targetILNS1_3genE10ELNS1_11target_archE1200ELNS1_3gpuE4ELNS1_3repE0EEENS1_30default_config_static_selectorELNS0_4arch9wavefront6targetE0EEEvSF_.private_seg_size, 0
	.set _ZN7rocprim17ROCPRIM_400000_NS6detail17trampoline_kernelINS0_14default_configENS1_22reduce_config_selectorI18summary_stats_dataIfEEEZNS1_11reduce_implILb1ES3_PS6_S9_S6_23summary_stats_binary_opIfEEE10hipError_tPvRmT1_T2_T3_mT4_P12ihipStream_tbEUlT_E1_NS1_11comp_targetILNS1_3genE10ELNS1_11target_archE1200ELNS1_3gpuE4ELNS1_3repE0EEENS1_30default_config_static_selectorELNS0_4arch9wavefront6targetE0EEEvSF_.uses_vcc, 0
	.set _ZN7rocprim17ROCPRIM_400000_NS6detail17trampoline_kernelINS0_14default_configENS1_22reduce_config_selectorI18summary_stats_dataIfEEEZNS1_11reduce_implILb1ES3_PS6_S9_S6_23summary_stats_binary_opIfEEE10hipError_tPvRmT1_T2_T3_mT4_P12ihipStream_tbEUlT_E1_NS1_11comp_targetILNS1_3genE10ELNS1_11target_archE1200ELNS1_3gpuE4ELNS1_3repE0EEENS1_30default_config_static_selectorELNS0_4arch9wavefront6targetE0EEEvSF_.uses_flat_scratch, 0
	.set _ZN7rocprim17ROCPRIM_400000_NS6detail17trampoline_kernelINS0_14default_configENS1_22reduce_config_selectorI18summary_stats_dataIfEEEZNS1_11reduce_implILb1ES3_PS6_S9_S6_23summary_stats_binary_opIfEEE10hipError_tPvRmT1_T2_T3_mT4_P12ihipStream_tbEUlT_E1_NS1_11comp_targetILNS1_3genE10ELNS1_11target_archE1200ELNS1_3gpuE4ELNS1_3repE0EEENS1_30default_config_static_selectorELNS0_4arch9wavefront6targetE0EEEvSF_.has_dyn_sized_stack, 0
	.set _ZN7rocprim17ROCPRIM_400000_NS6detail17trampoline_kernelINS0_14default_configENS1_22reduce_config_selectorI18summary_stats_dataIfEEEZNS1_11reduce_implILb1ES3_PS6_S9_S6_23summary_stats_binary_opIfEEE10hipError_tPvRmT1_T2_T3_mT4_P12ihipStream_tbEUlT_E1_NS1_11comp_targetILNS1_3genE10ELNS1_11target_archE1200ELNS1_3gpuE4ELNS1_3repE0EEENS1_30default_config_static_selectorELNS0_4arch9wavefront6targetE0EEEvSF_.has_recursion, 0
	.set _ZN7rocprim17ROCPRIM_400000_NS6detail17trampoline_kernelINS0_14default_configENS1_22reduce_config_selectorI18summary_stats_dataIfEEEZNS1_11reduce_implILb1ES3_PS6_S9_S6_23summary_stats_binary_opIfEEE10hipError_tPvRmT1_T2_T3_mT4_P12ihipStream_tbEUlT_E1_NS1_11comp_targetILNS1_3genE10ELNS1_11target_archE1200ELNS1_3gpuE4ELNS1_3repE0EEENS1_30default_config_static_selectorELNS0_4arch9wavefront6targetE0EEEvSF_.has_indirect_call, 0
	.section	.AMDGPU.csdata,"",@progbits
; Kernel info:
; codeLenInByte = 0
; TotalNumSgprs: 0
; NumVgprs: 0
; ScratchSize: 0
; MemoryBound: 0
; FloatMode: 240
; IeeeMode: 1
; LDSByteSize: 0 bytes/workgroup (compile time only)
; SGPRBlocks: 0
; VGPRBlocks: 0
; NumSGPRsForWavesPerEU: 1
; NumVGPRsForWavesPerEU: 1
; Occupancy: 16
; WaveLimiterHint : 0
; COMPUTE_PGM_RSRC2:SCRATCH_EN: 0
; COMPUTE_PGM_RSRC2:USER_SGPR: 6
; COMPUTE_PGM_RSRC2:TRAP_HANDLER: 0
; COMPUTE_PGM_RSRC2:TGID_X_EN: 1
; COMPUTE_PGM_RSRC2:TGID_Y_EN: 0
; COMPUTE_PGM_RSRC2:TGID_Z_EN: 0
; COMPUTE_PGM_RSRC2:TIDIG_COMP_CNT: 0
	.section	.text._ZN7rocprim17ROCPRIM_400000_NS6detail17trampoline_kernelINS0_14default_configENS1_22reduce_config_selectorI18summary_stats_dataIfEEEZNS1_11reduce_implILb1ES3_PS6_S9_S6_23summary_stats_binary_opIfEEE10hipError_tPvRmT1_T2_T3_mT4_P12ihipStream_tbEUlT_E1_NS1_11comp_targetILNS1_3genE9ELNS1_11target_archE1100ELNS1_3gpuE3ELNS1_3repE0EEENS1_30default_config_static_selectorELNS0_4arch9wavefront6targetE0EEEvSF_,"axG",@progbits,_ZN7rocprim17ROCPRIM_400000_NS6detail17trampoline_kernelINS0_14default_configENS1_22reduce_config_selectorI18summary_stats_dataIfEEEZNS1_11reduce_implILb1ES3_PS6_S9_S6_23summary_stats_binary_opIfEEE10hipError_tPvRmT1_T2_T3_mT4_P12ihipStream_tbEUlT_E1_NS1_11comp_targetILNS1_3genE9ELNS1_11target_archE1100ELNS1_3gpuE3ELNS1_3repE0EEENS1_30default_config_static_selectorELNS0_4arch9wavefront6targetE0EEEvSF_,comdat
	.protected	_ZN7rocprim17ROCPRIM_400000_NS6detail17trampoline_kernelINS0_14default_configENS1_22reduce_config_selectorI18summary_stats_dataIfEEEZNS1_11reduce_implILb1ES3_PS6_S9_S6_23summary_stats_binary_opIfEEE10hipError_tPvRmT1_T2_T3_mT4_P12ihipStream_tbEUlT_E1_NS1_11comp_targetILNS1_3genE9ELNS1_11target_archE1100ELNS1_3gpuE3ELNS1_3repE0EEENS1_30default_config_static_selectorELNS0_4arch9wavefront6targetE0EEEvSF_ ; -- Begin function _ZN7rocprim17ROCPRIM_400000_NS6detail17trampoline_kernelINS0_14default_configENS1_22reduce_config_selectorI18summary_stats_dataIfEEEZNS1_11reduce_implILb1ES3_PS6_S9_S6_23summary_stats_binary_opIfEEE10hipError_tPvRmT1_T2_T3_mT4_P12ihipStream_tbEUlT_E1_NS1_11comp_targetILNS1_3genE9ELNS1_11target_archE1100ELNS1_3gpuE3ELNS1_3repE0EEENS1_30default_config_static_selectorELNS0_4arch9wavefront6targetE0EEEvSF_
	.globl	_ZN7rocprim17ROCPRIM_400000_NS6detail17trampoline_kernelINS0_14default_configENS1_22reduce_config_selectorI18summary_stats_dataIfEEEZNS1_11reduce_implILb1ES3_PS6_S9_S6_23summary_stats_binary_opIfEEE10hipError_tPvRmT1_T2_T3_mT4_P12ihipStream_tbEUlT_E1_NS1_11comp_targetILNS1_3genE9ELNS1_11target_archE1100ELNS1_3gpuE3ELNS1_3repE0EEENS1_30default_config_static_selectorELNS0_4arch9wavefront6targetE0EEEvSF_
	.p2align	8
	.type	_ZN7rocprim17ROCPRIM_400000_NS6detail17trampoline_kernelINS0_14default_configENS1_22reduce_config_selectorI18summary_stats_dataIfEEEZNS1_11reduce_implILb1ES3_PS6_S9_S6_23summary_stats_binary_opIfEEE10hipError_tPvRmT1_T2_T3_mT4_P12ihipStream_tbEUlT_E1_NS1_11comp_targetILNS1_3genE9ELNS1_11target_archE1100ELNS1_3gpuE3ELNS1_3repE0EEENS1_30default_config_static_selectorELNS0_4arch9wavefront6targetE0EEEvSF_,@function
_ZN7rocprim17ROCPRIM_400000_NS6detail17trampoline_kernelINS0_14default_configENS1_22reduce_config_selectorI18summary_stats_dataIfEEEZNS1_11reduce_implILb1ES3_PS6_S9_S6_23summary_stats_binary_opIfEEE10hipError_tPvRmT1_T2_T3_mT4_P12ihipStream_tbEUlT_E1_NS1_11comp_targetILNS1_3genE9ELNS1_11target_archE1100ELNS1_3gpuE3ELNS1_3repE0EEENS1_30default_config_static_selectorELNS0_4arch9wavefront6targetE0EEEvSF_: ; @_ZN7rocprim17ROCPRIM_400000_NS6detail17trampoline_kernelINS0_14default_configENS1_22reduce_config_selectorI18summary_stats_dataIfEEEZNS1_11reduce_implILb1ES3_PS6_S9_S6_23summary_stats_binary_opIfEEE10hipError_tPvRmT1_T2_T3_mT4_P12ihipStream_tbEUlT_E1_NS1_11comp_targetILNS1_3genE9ELNS1_11target_archE1100ELNS1_3gpuE3ELNS1_3repE0EEENS1_30default_config_static_selectorELNS0_4arch9wavefront6targetE0EEEvSF_
; %bb.0:
	.section	.rodata,"a",@progbits
	.p2align	6, 0x0
	.amdhsa_kernel _ZN7rocprim17ROCPRIM_400000_NS6detail17trampoline_kernelINS0_14default_configENS1_22reduce_config_selectorI18summary_stats_dataIfEEEZNS1_11reduce_implILb1ES3_PS6_S9_S6_23summary_stats_binary_opIfEEE10hipError_tPvRmT1_T2_T3_mT4_P12ihipStream_tbEUlT_E1_NS1_11comp_targetILNS1_3genE9ELNS1_11target_archE1100ELNS1_3gpuE3ELNS1_3repE0EEENS1_30default_config_static_selectorELNS0_4arch9wavefront6targetE0EEEvSF_
		.amdhsa_group_segment_fixed_size 0
		.amdhsa_private_segment_fixed_size 0
		.amdhsa_kernarg_size 64
		.amdhsa_user_sgpr_count 6
		.amdhsa_user_sgpr_private_segment_buffer 1
		.amdhsa_user_sgpr_dispatch_ptr 0
		.amdhsa_user_sgpr_queue_ptr 0
		.amdhsa_user_sgpr_kernarg_segment_ptr 1
		.amdhsa_user_sgpr_dispatch_id 0
		.amdhsa_user_sgpr_flat_scratch_init 0
		.amdhsa_user_sgpr_private_segment_size 0
		.amdhsa_wavefront_size32 1
		.amdhsa_uses_dynamic_stack 0
		.amdhsa_system_sgpr_private_segment_wavefront_offset 0
		.amdhsa_system_sgpr_workgroup_id_x 1
		.amdhsa_system_sgpr_workgroup_id_y 0
		.amdhsa_system_sgpr_workgroup_id_z 0
		.amdhsa_system_sgpr_workgroup_info 0
		.amdhsa_system_vgpr_workitem_id 0
		.amdhsa_next_free_vgpr 1
		.amdhsa_next_free_sgpr 1
		.amdhsa_reserve_vcc 0
		.amdhsa_reserve_flat_scratch 0
		.amdhsa_float_round_mode_32 0
		.amdhsa_float_round_mode_16_64 0
		.amdhsa_float_denorm_mode_32 3
		.amdhsa_float_denorm_mode_16_64 3
		.amdhsa_dx10_clamp 1
		.amdhsa_ieee_mode 1
		.amdhsa_fp16_overflow 0
		.amdhsa_workgroup_processor_mode 1
		.amdhsa_memory_ordered 1
		.amdhsa_forward_progress 1
		.amdhsa_shared_vgpr_count 0
		.amdhsa_exception_fp_ieee_invalid_op 0
		.amdhsa_exception_fp_denorm_src 0
		.amdhsa_exception_fp_ieee_div_zero 0
		.amdhsa_exception_fp_ieee_overflow 0
		.amdhsa_exception_fp_ieee_underflow 0
		.amdhsa_exception_fp_ieee_inexact 0
		.amdhsa_exception_int_div_zero 0
	.end_amdhsa_kernel
	.section	.text._ZN7rocprim17ROCPRIM_400000_NS6detail17trampoline_kernelINS0_14default_configENS1_22reduce_config_selectorI18summary_stats_dataIfEEEZNS1_11reduce_implILb1ES3_PS6_S9_S6_23summary_stats_binary_opIfEEE10hipError_tPvRmT1_T2_T3_mT4_P12ihipStream_tbEUlT_E1_NS1_11comp_targetILNS1_3genE9ELNS1_11target_archE1100ELNS1_3gpuE3ELNS1_3repE0EEENS1_30default_config_static_selectorELNS0_4arch9wavefront6targetE0EEEvSF_,"axG",@progbits,_ZN7rocprim17ROCPRIM_400000_NS6detail17trampoline_kernelINS0_14default_configENS1_22reduce_config_selectorI18summary_stats_dataIfEEEZNS1_11reduce_implILb1ES3_PS6_S9_S6_23summary_stats_binary_opIfEEE10hipError_tPvRmT1_T2_T3_mT4_P12ihipStream_tbEUlT_E1_NS1_11comp_targetILNS1_3genE9ELNS1_11target_archE1100ELNS1_3gpuE3ELNS1_3repE0EEENS1_30default_config_static_selectorELNS0_4arch9wavefront6targetE0EEEvSF_,comdat
.Lfunc_end16:
	.size	_ZN7rocprim17ROCPRIM_400000_NS6detail17trampoline_kernelINS0_14default_configENS1_22reduce_config_selectorI18summary_stats_dataIfEEEZNS1_11reduce_implILb1ES3_PS6_S9_S6_23summary_stats_binary_opIfEEE10hipError_tPvRmT1_T2_T3_mT4_P12ihipStream_tbEUlT_E1_NS1_11comp_targetILNS1_3genE9ELNS1_11target_archE1100ELNS1_3gpuE3ELNS1_3repE0EEENS1_30default_config_static_selectorELNS0_4arch9wavefront6targetE0EEEvSF_, .Lfunc_end16-_ZN7rocprim17ROCPRIM_400000_NS6detail17trampoline_kernelINS0_14default_configENS1_22reduce_config_selectorI18summary_stats_dataIfEEEZNS1_11reduce_implILb1ES3_PS6_S9_S6_23summary_stats_binary_opIfEEE10hipError_tPvRmT1_T2_T3_mT4_P12ihipStream_tbEUlT_E1_NS1_11comp_targetILNS1_3genE9ELNS1_11target_archE1100ELNS1_3gpuE3ELNS1_3repE0EEENS1_30default_config_static_selectorELNS0_4arch9wavefront6targetE0EEEvSF_
                                        ; -- End function
	.set _ZN7rocprim17ROCPRIM_400000_NS6detail17trampoline_kernelINS0_14default_configENS1_22reduce_config_selectorI18summary_stats_dataIfEEEZNS1_11reduce_implILb1ES3_PS6_S9_S6_23summary_stats_binary_opIfEEE10hipError_tPvRmT1_T2_T3_mT4_P12ihipStream_tbEUlT_E1_NS1_11comp_targetILNS1_3genE9ELNS1_11target_archE1100ELNS1_3gpuE3ELNS1_3repE0EEENS1_30default_config_static_selectorELNS0_4arch9wavefront6targetE0EEEvSF_.num_vgpr, 0
	.set _ZN7rocprim17ROCPRIM_400000_NS6detail17trampoline_kernelINS0_14default_configENS1_22reduce_config_selectorI18summary_stats_dataIfEEEZNS1_11reduce_implILb1ES3_PS6_S9_S6_23summary_stats_binary_opIfEEE10hipError_tPvRmT1_T2_T3_mT4_P12ihipStream_tbEUlT_E1_NS1_11comp_targetILNS1_3genE9ELNS1_11target_archE1100ELNS1_3gpuE3ELNS1_3repE0EEENS1_30default_config_static_selectorELNS0_4arch9wavefront6targetE0EEEvSF_.num_agpr, 0
	.set _ZN7rocprim17ROCPRIM_400000_NS6detail17trampoline_kernelINS0_14default_configENS1_22reduce_config_selectorI18summary_stats_dataIfEEEZNS1_11reduce_implILb1ES3_PS6_S9_S6_23summary_stats_binary_opIfEEE10hipError_tPvRmT1_T2_T3_mT4_P12ihipStream_tbEUlT_E1_NS1_11comp_targetILNS1_3genE9ELNS1_11target_archE1100ELNS1_3gpuE3ELNS1_3repE0EEENS1_30default_config_static_selectorELNS0_4arch9wavefront6targetE0EEEvSF_.numbered_sgpr, 0
	.set _ZN7rocprim17ROCPRIM_400000_NS6detail17trampoline_kernelINS0_14default_configENS1_22reduce_config_selectorI18summary_stats_dataIfEEEZNS1_11reduce_implILb1ES3_PS6_S9_S6_23summary_stats_binary_opIfEEE10hipError_tPvRmT1_T2_T3_mT4_P12ihipStream_tbEUlT_E1_NS1_11comp_targetILNS1_3genE9ELNS1_11target_archE1100ELNS1_3gpuE3ELNS1_3repE0EEENS1_30default_config_static_selectorELNS0_4arch9wavefront6targetE0EEEvSF_.num_named_barrier, 0
	.set _ZN7rocprim17ROCPRIM_400000_NS6detail17trampoline_kernelINS0_14default_configENS1_22reduce_config_selectorI18summary_stats_dataIfEEEZNS1_11reduce_implILb1ES3_PS6_S9_S6_23summary_stats_binary_opIfEEE10hipError_tPvRmT1_T2_T3_mT4_P12ihipStream_tbEUlT_E1_NS1_11comp_targetILNS1_3genE9ELNS1_11target_archE1100ELNS1_3gpuE3ELNS1_3repE0EEENS1_30default_config_static_selectorELNS0_4arch9wavefront6targetE0EEEvSF_.private_seg_size, 0
	.set _ZN7rocprim17ROCPRIM_400000_NS6detail17trampoline_kernelINS0_14default_configENS1_22reduce_config_selectorI18summary_stats_dataIfEEEZNS1_11reduce_implILb1ES3_PS6_S9_S6_23summary_stats_binary_opIfEEE10hipError_tPvRmT1_T2_T3_mT4_P12ihipStream_tbEUlT_E1_NS1_11comp_targetILNS1_3genE9ELNS1_11target_archE1100ELNS1_3gpuE3ELNS1_3repE0EEENS1_30default_config_static_selectorELNS0_4arch9wavefront6targetE0EEEvSF_.uses_vcc, 0
	.set _ZN7rocprim17ROCPRIM_400000_NS6detail17trampoline_kernelINS0_14default_configENS1_22reduce_config_selectorI18summary_stats_dataIfEEEZNS1_11reduce_implILb1ES3_PS6_S9_S6_23summary_stats_binary_opIfEEE10hipError_tPvRmT1_T2_T3_mT4_P12ihipStream_tbEUlT_E1_NS1_11comp_targetILNS1_3genE9ELNS1_11target_archE1100ELNS1_3gpuE3ELNS1_3repE0EEENS1_30default_config_static_selectorELNS0_4arch9wavefront6targetE0EEEvSF_.uses_flat_scratch, 0
	.set _ZN7rocprim17ROCPRIM_400000_NS6detail17trampoline_kernelINS0_14default_configENS1_22reduce_config_selectorI18summary_stats_dataIfEEEZNS1_11reduce_implILb1ES3_PS6_S9_S6_23summary_stats_binary_opIfEEE10hipError_tPvRmT1_T2_T3_mT4_P12ihipStream_tbEUlT_E1_NS1_11comp_targetILNS1_3genE9ELNS1_11target_archE1100ELNS1_3gpuE3ELNS1_3repE0EEENS1_30default_config_static_selectorELNS0_4arch9wavefront6targetE0EEEvSF_.has_dyn_sized_stack, 0
	.set _ZN7rocprim17ROCPRIM_400000_NS6detail17trampoline_kernelINS0_14default_configENS1_22reduce_config_selectorI18summary_stats_dataIfEEEZNS1_11reduce_implILb1ES3_PS6_S9_S6_23summary_stats_binary_opIfEEE10hipError_tPvRmT1_T2_T3_mT4_P12ihipStream_tbEUlT_E1_NS1_11comp_targetILNS1_3genE9ELNS1_11target_archE1100ELNS1_3gpuE3ELNS1_3repE0EEENS1_30default_config_static_selectorELNS0_4arch9wavefront6targetE0EEEvSF_.has_recursion, 0
	.set _ZN7rocprim17ROCPRIM_400000_NS6detail17trampoline_kernelINS0_14default_configENS1_22reduce_config_selectorI18summary_stats_dataIfEEEZNS1_11reduce_implILb1ES3_PS6_S9_S6_23summary_stats_binary_opIfEEE10hipError_tPvRmT1_T2_T3_mT4_P12ihipStream_tbEUlT_E1_NS1_11comp_targetILNS1_3genE9ELNS1_11target_archE1100ELNS1_3gpuE3ELNS1_3repE0EEENS1_30default_config_static_selectorELNS0_4arch9wavefront6targetE0EEEvSF_.has_indirect_call, 0
	.section	.AMDGPU.csdata,"",@progbits
; Kernel info:
; codeLenInByte = 0
; TotalNumSgprs: 0
; NumVgprs: 0
; ScratchSize: 0
; MemoryBound: 0
; FloatMode: 240
; IeeeMode: 1
; LDSByteSize: 0 bytes/workgroup (compile time only)
; SGPRBlocks: 0
; VGPRBlocks: 0
; NumSGPRsForWavesPerEU: 1
; NumVGPRsForWavesPerEU: 1
; Occupancy: 16
; WaveLimiterHint : 0
; COMPUTE_PGM_RSRC2:SCRATCH_EN: 0
; COMPUTE_PGM_RSRC2:USER_SGPR: 6
; COMPUTE_PGM_RSRC2:TRAP_HANDLER: 0
; COMPUTE_PGM_RSRC2:TGID_X_EN: 1
; COMPUTE_PGM_RSRC2:TGID_Y_EN: 0
; COMPUTE_PGM_RSRC2:TGID_Z_EN: 0
; COMPUTE_PGM_RSRC2:TIDIG_COMP_CNT: 0
	.section	.text._ZN7rocprim17ROCPRIM_400000_NS6detail17trampoline_kernelINS0_14default_configENS1_22reduce_config_selectorI18summary_stats_dataIfEEEZNS1_11reduce_implILb1ES3_PS6_S9_S6_23summary_stats_binary_opIfEEE10hipError_tPvRmT1_T2_T3_mT4_P12ihipStream_tbEUlT_E1_NS1_11comp_targetILNS1_3genE8ELNS1_11target_archE1030ELNS1_3gpuE2ELNS1_3repE0EEENS1_30default_config_static_selectorELNS0_4arch9wavefront6targetE0EEEvSF_,"axG",@progbits,_ZN7rocprim17ROCPRIM_400000_NS6detail17trampoline_kernelINS0_14default_configENS1_22reduce_config_selectorI18summary_stats_dataIfEEEZNS1_11reduce_implILb1ES3_PS6_S9_S6_23summary_stats_binary_opIfEEE10hipError_tPvRmT1_T2_T3_mT4_P12ihipStream_tbEUlT_E1_NS1_11comp_targetILNS1_3genE8ELNS1_11target_archE1030ELNS1_3gpuE2ELNS1_3repE0EEENS1_30default_config_static_selectorELNS0_4arch9wavefront6targetE0EEEvSF_,comdat
	.protected	_ZN7rocprim17ROCPRIM_400000_NS6detail17trampoline_kernelINS0_14default_configENS1_22reduce_config_selectorI18summary_stats_dataIfEEEZNS1_11reduce_implILb1ES3_PS6_S9_S6_23summary_stats_binary_opIfEEE10hipError_tPvRmT1_T2_T3_mT4_P12ihipStream_tbEUlT_E1_NS1_11comp_targetILNS1_3genE8ELNS1_11target_archE1030ELNS1_3gpuE2ELNS1_3repE0EEENS1_30default_config_static_selectorELNS0_4arch9wavefront6targetE0EEEvSF_ ; -- Begin function _ZN7rocprim17ROCPRIM_400000_NS6detail17trampoline_kernelINS0_14default_configENS1_22reduce_config_selectorI18summary_stats_dataIfEEEZNS1_11reduce_implILb1ES3_PS6_S9_S6_23summary_stats_binary_opIfEEE10hipError_tPvRmT1_T2_T3_mT4_P12ihipStream_tbEUlT_E1_NS1_11comp_targetILNS1_3genE8ELNS1_11target_archE1030ELNS1_3gpuE2ELNS1_3repE0EEENS1_30default_config_static_selectorELNS0_4arch9wavefront6targetE0EEEvSF_
	.globl	_ZN7rocprim17ROCPRIM_400000_NS6detail17trampoline_kernelINS0_14default_configENS1_22reduce_config_selectorI18summary_stats_dataIfEEEZNS1_11reduce_implILb1ES3_PS6_S9_S6_23summary_stats_binary_opIfEEE10hipError_tPvRmT1_T2_T3_mT4_P12ihipStream_tbEUlT_E1_NS1_11comp_targetILNS1_3genE8ELNS1_11target_archE1030ELNS1_3gpuE2ELNS1_3repE0EEENS1_30default_config_static_selectorELNS0_4arch9wavefront6targetE0EEEvSF_
	.p2align	8
	.type	_ZN7rocprim17ROCPRIM_400000_NS6detail17trampoline_kernelINS0_14default_configENS1_22reduce_config_selectorI18summary_stats_dataIfEEEZNS1_11reduce_implILb1ES3_PS6_S9_S6_23summary_stats_binary_opIfEEE10hipError_tPvRmT1_T2_T3_mT4_P12ihipStream_tbEUlT_E1_NS1_11comp_targetILNS1_3genE8ELNS1_11target_archE1030ELNS1_3gpuE2ELNS1_3repE0EEENS1_30default_config_static_selectorELNS0_4arch9wavefront6targetE0EEEvSF_,@function
_ZN7rocprim17ROCPRIM_400000_NS6detail17trampoline_kernelINS0_14default_configENS1_22reduce_config_selectorI18summary_stats_dataIfEEEZNS1_11reduce_implILb1ES3_PS6_S9_S6_23summary_stats_binary_opIfEEE10hipError_tPvRmT1_T2_T3_mT4_P12ihipStream_tbEUlT_E1_NS1_11comp_targetILNS1_3genE8ELNS1_11target_archE1030ELNS1_3gpuE2ELNS1_3repE0EEENS1_30default_config_static_selectorELNS0_4arch9wavefront6targetE0EEEvSF_: ; @_ZN7rocprim17ROCPRIM_400000_NS6detail17trampoline_kernelINS0_14default_configENS1_22reduce_config_selectorI18summary_stats_dataIfEEEZNS1_11reduce_implILb1ES3_PS6_S9_S6_23summary_stats_binary_opIfEEE10hipError_tPvRmT1_T2_T3_mT4_P12ihipStream_tbEUlT_E1_NS1_11comp_targetILNS1_3genE8ELNS1_11target_archE1030ELNS1_3gpuE2ELNS1_3repE0EEENS1_30default_config_static_selectorELNS0_4arch9wavefront6targetE0EEEvSF_
; %bb.0:
	s_clause 0x2
	s_load_dword s26, s[4:5], 0x4
	s_load_dwordx4 s[20:23], s[4:5], 0x8
	s_load_dwordx8 s[12:19], s[4:5], 0x20
	s_waitcnt lgkmcnt(0)
	s_cmp_lt_i32 s26, 2
	s_cbranch_scc1 .LBB17_9
; %bb.1:
	s_cmp_gt_i32 s26, 3
	s_cbranch_scc0 .LBB17_10
; %bb.2:
	s_cmp_eq_u32 s26, 4
	s_mov_b32 s11, 0
	s_cbranch_scc0 .LBB17_11
; %bb.3:
	s_lshl_b32 s19, s6, 10
	s_mul_i32 s2, s6, 0x7000
	s_lshr_b64 s[0:1], s[22:23], 10
	s_mul_hi_u32 s3, s19, 28
	s_mov_b32 s7, 0
	s_add_u32 s24, s20, s2
	s_addc_u32 s25, s21, s3
	s_cmp_lg_u64 s[0:1], s[6:7]
	s_cbranch_scc0 .LBB17_20
; %bb.4:
	v_mad_u64_u32 v[13:14], null, v0, 28, s[24:25]
	v_add_co_u32 v1, vcc_lo, 0x1800, v13
	v_add_co_ci_u32_e64 v2, null, 0, v14, vcc_lo
	v_add_co_u32 v3, vcc_lo, 0x1c00, v13
	v_add_co_ci_u32_e64 v4, null, 0, v14, vcc_lo
	s_clause 0x3
	global_load_dwordx4 v[9:12], v[13:14], off
	global_load_dwordx4 v[25:28], v[1:2], off offset:1024
	global_load_dwordx3 v[21:23], v[13:14], off offset:16
	global_load_dwordx3 v[29:31], v[3:4], off offset:16
	v_add_co_u32 v15, vcc_lo, 0x3800, v13
	v_add_co_ci_u32_e64 v16, null, 0, v14, vcc_lo
	v_add_co_u32 v1, vcc_lo, 0x5000, v13
	v_add_co_ci_u32_e64 v2, null, 0, v14, vcc_lo
	s_clause 0x2
	global_load_dwordx4 v[5:8], v[15:16], off
	global_load_dwordx4 v[1:4], v[1:2], off offset:1024
	global_load_dwordx3 v[16:18], v[15:16], off offset:16
	v_add_co_u32 v13, vcc_lo, 0x5400, v13
	v_add_co_ci_u32_e64 v14, null, 0, v14, vcc_lo
	global_load_dwordx3 v[13:15], v[13:14], off offset:16
	s_waitcnt vmcnt(7)
	v_mul_f32_e32 v24, v9, v9
	s_waitcnt vmcnt(6)
	v_cmp_lt_f32_e32 vcc_lo, v26, v10
	v_sub_f32_e32 v32, v28, v12
	v_add_f32_e32 v19, v9, v25
	s_waitcnt vmcnt(5)
	v_mul_f32_e32 v34, v21, v25
	s_waitcnt vmcnt(4)
	v_add_f32_e32 v20, v21, v29
	v_cndmask_b32_e32 v26, v10, v26, vcc_lo
	v_cmp_lt_f32_e32 vcc_lo, v11, v27
	v_mul_f32_e32 v38, v25, v32
	v_mul_f32_e32 v37, v32, v32
	v_add_f32_e32 v10, v23, v31
	v_mul_f32_e32 v23, v25, v25
	v_cndmask_b32_e32 v27, v11, v27, vcc_lo
	s_waitcnt vmcnt(3)
	v_cmp_lt_f32_e32 vcc_lo, v6, v26
	v_div_scale_f32 v40, null, v19, v19, v38
	v_mul_f32_e32 v35, v24, v29
	v_mul_f32_e32 v39, 0x40400000, v32
	v_cndmask_b32_e32 v6, v26, v6, vcc_lo
	v_cmp_lt_f32_e32 vcc_lo, v27, v7
	v_rcp_f32_e32 v45, v40
	v_fma_f32 v29, v9, v29, -v34
	v_mul_f32_e32 v42, v9, v37
	s_waitcnt vmcnt(2)
	v_cmp_lt_f32_e64 s0, v2, v6
	v_cndmask_b32_e32 v26, v27, v7, vcc_lo
	v_mul_f32_e32 v27, v32, v37
	v_div_scale_f32 v41, vcc_lo, v38, v19, v38
	v_cndmask_b32_e64 v2, v6, v2, s0
	v_cmp_lt_f32_e64 s0, v26, v3
	v_mul_f32_e32 v6, v32, v27
	v_fma_f32 v31, -v9, v25, v24
	v_mul_f32_e32 v24, v22, v25
	v_fmac_f32_e32 v35, v21, v23
	v_cndmask_b32_e64 v3, v26, v3, s0
	v_mul_f32_e32 v26, v9, v27
	v_fma_f32 v27, -v40, v45, 1.0
	v_mul_f32_e32 v23, 4.0, v32
	v_mul_f32_e32 v39, v39, v29
	v_mul_f32_e32 v29, 0x40c00000, v37
	v_mul_f32_e32 v32, v25, v42
	v_fmac_f32_e32 v45, v27, v45
	v_sub_f32_e32 v33, v9, v25
	v_fma_f32 v24, v9, v30, -v24
	v_mul_f32_e32 v35, v29, v35
	v_div_scale_f32 v29, null, v19, v19, v32
	v_mul_f32_e32 v48, v41, v45
	v_mul_f32_e32 v6, v9, v6
	;; [unrolled: 1-line block ×3, first 2 shown]
	v_rcp_f32_e32 v51, v29
	v_mul_f32_e32 v36, v19, v19
	v_fma_f32 v9, -v40, v48, v41
	v_div_scale_f32 v42, null, v19, v19, v39
	v_mul_f32_e32 v33, v33, v50
	v_fmac_f32_e32 v31, v25, v25
	v_fmac_f32_e32 v48, v9, v45
	v_rcp_f32_e32 v52, v42
	v_mul_f32_e32 v6, v25, v6
	v_mul_f32_e32 v34, v19, v36
	v_mov_b32_dpp v25, v2 quad_perm:[1,0,3,2] row_mask:0xf bank_mask:0xf
	v_fma_f32 v40, -v40, v48, v41
	v_fma_f32 v41, -v29, v51, 1.0
	v_mul_f32_e32 v31, v31, v6
	v_div_scale_f32 v55, s2, v33, v36, v33
	v_div_fmas_f32 v40, v40, v45, v48
	v_div_scale_f32 v45, null, v36, v36, v33
	v_div_scale_f32 v48, vcc_lo, v32, v19, v32
	v_fmac_f32_e32 v51, v41, v51
	v_div_fixup_f32 v38, v40, v19, v38
	v_rcp_f32_e32 v40, v45
	v_div_scale_f32 v41, null, v36, v36, v35
	v_mul_f32_e32 v50, v48, v51
	v_add_f32_e32 v38, v12, v38
	v_fma_f32 v12, -v42, v52, 1.0
	v_div_scale_f32 v46, s1, v39, v19, v39
	v_fma_f32 v6, -v29, v50, v48
	v_rcp_f32_e32 v54, v41
	v_fmac_f32_e32 v52, v12, v52
	v_fma_f32 v12, -v45, v40, 1.0
	v_div_scale_f32 v56, null, v34, v34, v31
	v_fmac_f32_e32 v50, v6, v51
	v_cmp_lt_f32_e64 s3, v2, v25
	v_fmac_f32_e32 v40, v12, v40
	v_mul_f32_e32 v6, v46, v52
	v_mul_f32_e32 v37, v23, v24
	v_fma_f32 v12, -v29, v50, v48
	v_cndmask_b32_e64 v2, v25, v2, s3
	v_mul_f32_e32 v29, v55, v40
	v_rcp_f32_e32 v25, v56
	v_mov_b32_dpp v53, v3 quad_perm:[1,0,3,2] row_mask:0xf bank_mask:0xf
	v_div_fmas_f32 v48, v12, v51, v50
	v_fma_f32 v12, -v41, v54, 1.0
	v_fma_f32 v51, -v45, v29, v55
	v_fma_f32 v50, -v42, v6, v46
	v_div_scale_f32 v47, null, v19, v19, v37
	v_fmac_f32_e32 v54, v12, v54
	v_fmac_f32_e32 v29, v51, v40
	;; [unrolled: 1-line block ×3, first 2 shown]
	v_fma_f32 v12, -v56, v25, 1.0
	v_cmp_gt_f32_e32 vcc_lo, v3, v53
	v_div_scale_f32 v51, s8, v31, v34, v31
	v_fma_f32 v45, -v45, v29, v55
	v_fma_f32 v42, -v42, v6, v46
	v_rcp_f32_e32 v46, v47
	v_fmac_f32_e32 v25, v12, v25
	v_mov_b32_dpp v12, v2 quad_perm:[2,3,0,1] row_mask:0xf bank_mask:0xf
	v_cndmask_b32_e32 v3, v53, v3, vcc_lo
	s_mov_b32 vcc_lo, s2
	v_div_scale_f32 v50, s3, v35, v36, v35
	v_div_fmas_f32 v40, v45, v40, v29
	s_mov_b32 vcc_lo, s1
	v_mul_f32_e32 v45, v51, v25
	v_div_fmas_f32 v42, v42, v52, v6
	v_cmp_lt_f32_e32 vcc_lo, v2, v12
	v_mul_f32_e32 v29, v50, v54
	v_div_scale_f32 v49, s0, v37, v19, v37
	v_fma_f32 v55, -v56, v45, v51
	v_cndmask_b32_e32 v6, v12, v2, vcc_lo
	v_fma_f32 v2, -v47, v46, 1.0
	v_fma_f32 v52, -v41, v29, v50
	s_mov_b32 vcc_lo, s8
	v_fmac_f32_e32 v45, v55, v25
	v_sub_f32_e32 v8, v8, v38
	v_fmac_f32_e32 v46, v2, v46
	v_fmac_f32_e32 v29, v52, v54
	v_add_f32_e32 v21, v19, v5
	v_fma_f32 v2, -v56, v45, v51
	v_add_f32_e32 v11, v22, v30
	v_mul_f32_e32 v56, v49, v46
	v_fma_f32 v41, -v41, v29, v50
	v_mul_f32_e32 v28, v5, v5
	v_div_fmas_f32 v45, v2, v25, v45
	v_mov_b32_dpp v2, v3 quad_perm:[2,3,0,1] row_mask:0xf bank_mask:0xf
	v_fma_f32 v25, -v47, v56, v49
	s_mov_b32 vcc_lo, s3
	v_fma_f32 v43, -v19, v5, v36
	v_div_fmas_f32 v41, v41, v54, v29
	v_cmp_gt_f32_e32 vcc_lo, v3, v2
	v_fmac_f32_e32 v56, v25, v46
	s_waitcnt vmcnt(1)
	v_mul_f32_e32 v44, v36, v16
	v_div_fixup_f32 v33, v40, v36, v33
	v_div_fixup_f32 v35, v41, v36, v35
	v_cndmask_b32_e32 v3, v2, v3, vcc_lo
	v_fma_f32 v47, -v47, v56, v49
	s_mov_b32 vcc_lo, s0
	v_div_fixup_f32 v2, v48, v19, v32
	v_mul_f32_e32 v48, v5, v8
	v_div_fixup_f32 v39, v42, v19, v39
	v_div_fmas_f32 v46, v47, v46, v56
	v_mul_f32_e32 v47, v8, v8
	v_add_f32_e32 v20, v20, v2
	v_div_scale_f32 v36, null, v21, v21, v48
	v_div_fixup_f32 v31, v45, v34, v31
	v_mul_f32_e32 v42, v19, v47
	v_mul_f32_e32 v40, v8, v47
	v_fmac_f32_e32 v44, v28, v20
	v_add_f32_e32 v28, v20, v16
	v_mul_f32_e32 v20, v5, v20
	v_add_f32_e32 v11, v11, v33
	v_rcp_f32_e32 v33, v36
	v_mul_f32_e32 v42, v5, v42
	v_mul_f32_e32 v34, 0x40400000, v8
	v_mul_f32_e32 v45, 4.0, v8
	v_mul_f32_e32 v8, v8, v40
	v_mul_f32_e32 v40, v19, v40
	v_fma_f32 v16, v19, v16, -v20
	v_add_f32_e32 v10, v10, v31
	v_div_scale_f32 v31, null, v21, v21, v42
	v_sub_f32_e32 v30, v19, v5
	v_mul_f32_e32 v47, 0x40c00000, v47
	v_div_fixup_f32 v37, v46, v19, v37
	v_add_f32_e32 v11, v39, v11
	v_mul_f32_e32 v40, v5, v40
	v_mul_f32_e32 v16, v34, v16
	;; [unrolled: 1-line block ×3, first 2 shown]
	v_add_f32_e32 v10, v35, v10
	v_fma_f32 v35, -v36, v33, 1.0
	v_rcp_f32_e32 v46, v31
	v_mul_f32_e32 v24, v21, v21
	v_fmac_f32_e32 v43, v5, v5
	v_div_scale_f32 v41, vcc_lo, v48, v21, v48
	v_mul_f32_e32 v20, v47, v44
	v_mul_f32_e32 v30, v30, v40
	v_add_f32_e32 v40, v11, v17
	v_mul_f32_e32 v8, v5, v8
	v_mul_f32_e32 v5, v5, v11
	v_div_scale_f32 v11, null, v21, v21, v16
	v_fmac_f32_e32 v33, v35, v33
	v_div_scale_f32 v34, null, v24, v24, v20
	v_add_f32_e32 v10, v37, v10
	v_rcp_f32_e32 v37, v11
	v_fma_f32 v5, v19, v17, -v5
	v_mul_f32_e32 v17, v41, v33
	v_fma_f32 v19, -v31, v46, 1.0
	v_div_scale_f32 v39, s0, v42, v21, v42
	v_rcp_f32_e32 v49, v34
	v_fma_f32 v56, -v36, v17, v41
	v_fmac_f32_e32 v46, v19, v46
	v_mul_f32_e32 v27, v21, v24
	v_div_scale_f32 v35, null, v24, v24, v30
	v_mul_f32_e32 v8, v43, v8
	v_mul_f32_e32 v45, v45, v5
	v_fma_f32 v5, -v11, v37, 1.0
	v_fmac_f32_e32 v17, v56, v33
	v_mul_f32_e32 v56, v39, v46
	v_rcp_f32_e32 v43, v35
	v_add_f32_e32 v10, v18, v10
	v_div_scale_f32 v18, null, v27, v27, v8
	v_fma_f32 v19, -v34, v49, 1.0
	v_fmac_f32_e32 v37, v5, v37
	v_fma_f32 v5, -v31, v56, v39
	v_fma_f32 v36, -v36, v17, v41
	v_div_scale_f32 v44, s1, v20, v24, v20
	v_fmac_f32_e32 v49, v19, v49
	v_rcp_f32_e32 v19, v18
	v_fmac_f32_e32 v56, v5, v46
	v_div_scale_f32 v47, s2, v16, v21, v16
	v_div_scale_f32 v41, null, v21, v21, v45
	v_fma_f32 v5, -v35, v43, 1.0
	v_fma_f32 v31, -v31, v56, v39
	v_div_fmas_f32 v17, v36, v33, v17
	s_mov_b32 vcc_lo, s0
	v_div_scale_f32 v57, s3, v30, v24, v30
	v_mul_f32_e32 v33, v44, v49
	v_rcp_f32_e32 v36, v41
	v_fma_f32 v39, -v18, v19, 1.0
	v_div_fmas_f32 v31, v31, v46, v56
	v_mul_f32_e32 v46, v47, v37
	v_fmac_f32_e32 v43, v5, v43
	v_fma_f32 v56, -v34, v33, v44
	v_fmac_f32_e32 v19, v39, v19
	v_div_fixup_f32 v17, v17, v21, v48
	v_fma_f32 v5, -v11, v46, v47
	v_mul_f32_e32 v39, v57, v43
	v_fmac_f32_e32 v33, v56, v49
	v_fma_f32 v48, -v41, v36, 1.0
	v_div_scale_f32 v56, s0, v8, v27, v8
	v_fmac_f32_e32 v46, v5, v37
	v_fma_f32 v5, -v35, v39, v57
	v_fmac_f32_e32 v36, v48, v36
	v_add_f32_e32 v17, v38, v17
	v_mul_f32_e32 v38, v56, v19
	v_div_scale_f32 v48, s8, v45, v21, v45
	v_fmac_f32_e32 v39, v5, v43
	v_fma_f32 v11, -v11, v46, v47
	v_fma_f32 v47, -v18, v38, v56
	v_div_fixup_f32 v31, v31, v21, v42
	v_mul_f32_e32 v42, v48, v36
	v_fma_f32 v35, -v35, v39, v57
	s_mov_b32 vcc_lo, s3
	v_fmac_f32_e32 v38, v47, v19
	v_sub_f32_e32 v4, v4, v17
	v_mul_f32_e32 v22, v1, v1
	v_div_fmas_f32 v35, v35, v43, v39
	v_fma_f32 v39, -v41, v42, v48
	v_add_f32_e32 v7, v21, v1
	s_waitcnt vmcnt(0)
	v_mul_f32_e32 v53, v24, v13
	v_add_f32_e32 v28, v28, v31
	v_fma_f32 v18, -v18, v38, v56
	v_fmac_f32_e32 v42, v39, v36
	v_mul_f32_e32 v39, v4, v4
	v_mul_f32_e32 v43, v1, v4
	s_mov_b32 vcc_lo, s2
	v_fma_f32 v34, -v34, v33, v44
	v_div_fmas_f32 v11, v11, v37, v46
	s_mov_b32 vcc_lo, s0
	v_div_fixup_f32 v30, v35, v24, v30
	v_div_fmas_f32 v18, v18, v19, v38
	v_fma_f32 v19, -v41, v42, v48
	v_mul_f32_e32 v35, v4, v39
	v_div_scale_f32 v38, null, v7, v7, v43
	v_add_f32_e32 v48, v28, v13
	v_fmac_f32_e32 v53, v22, v28
	v_mul_f32_e32 v22, v21, v39
	v_mul_f32_e32 v28, v1, v28
	;; [unrolled: 1-line block ×3, first 2 shown]
	s_mov_b32 vcc_lo, s1
	v_div_fixup_f32 v11, v11, v21, v16
	v_div_fmas_f32 v16, v34, v49, v33
	s_mov_b32 vcc_lo, s8
	v_mul_f32_e32 v9, v7, v7
	v_mul_f32_e32 v37, 0x40400000, v4
	v_mul_f32_e32 v46, 4.0, v4
	v_add_f32_e32 v30, v40, v30
	v_div_fixup_f32 v8, v18, v27, v8
	v_div_fmas_f32 v18, v19, v36, v42
	v_mul_f32_e32 v4, v4, v35
	v_rcp_f32_e32 v19, v38
	v_mul_f32_e32 v22, v1, v22
	v_mul_f32_e32 v27, v21, v35
	v_fma_f32 v13, v21, v13, -v28
	v_mul_f32_e32 v28, v39, v53
	v_sub_f32_e32 v23, v21, v1
	v_fma_f32 v26, -v21, v1, v24
	v_div_fixup_f32 v16, v16, v24, v20
	v_add_f32_e32 v11, v11, v30
	v_add_f32_e32 v8, v10, v8
	v_div_fixup_f32 v10, v18, v21, v45
	v_div_scale_f32 v18, null, v7, v7, v22
	v_mul_f32_e32 v24, v1, v27
	v_mul_f32_e32 v13, v37, v13
	;; [unrolled: 1-line block ×3, first 2 shown]
	v_div_scale_f32 v27, null, v9, v9, v28
	v_fmac_f32_e32 v26, v1, v1
	v_add_f32_e32 v8, v16, v8
	v_fma_f32 v16, -v38, v19, 1.0
	v_rcp_f32_e32 v33, v18
	v_mul_f32_e32 v23, v23, v24
	v_div_scale_f32 v24, null, v7, v7, v13
	v_mul_f32_e32 v4, v1, v4
	v_rcp_f32_e32 v36, v27
	v_mul_f32_e32 v1, v1, v11
	v_mul_f32_e32 v55, v7, v9
	v_div_scale_f32 v41, s0, v43, v7, v43
	v_add_f32_e32 v8, v10, v8
	v_fmac_f32_e32 v19, v16, v19
	v_div_scale_f32 v10, null, v9, v9, v23
	v_rcp_f32_e32 v16, v24
	v_mul_f32_e32 v4, v26, v4
	v_fma_f32 v1, v21, v14, -v1
	v_add_f32_e32 v34, v11, v14
	v_mul_f32_e32 v14, v41, v19
	v_fma_f32 v21, -v18, v33, 1.0
	v_rcp_f32_e32 v26, v10
	v_add_f32_e32 v8, v15, v8
	v_div_scale_f32 v15, null, v55, v55, v4
	v_fma_f32 v39, -v27, v36, 1.0
	v_mul_f32_e32 v1, v46, v1
	v_div_scale_f32 v20, s1, v22, v7, v22
	v_fma_f32 v40, -v38, v14, v41
	v_fmac_f32_e32 v33, v21, v33
	v_fma_f32 v21, -v24, v16, 1.0
	v_rcp_f32_e32 v42, v15
	v_fmac_f32_e32 v36, v39, v36
	v_div_scale_f32 v39, null, v7, v7, v1
	v_div_scale_f32 v35, s3, v13, v7, v13
	v_fmac_f32_e32 v14, v40, v19
	v_mul_f32_e32 v40, v20, v33
	v_fma_f32 v46, -v10, v26, 1.0
	v_fmac_f32_e32 v16, v21, v16
	v_rcp_f32_e32 v49, v39
	v_div_scale_f32 v11, s8, v23, v9, v23
	v_fma_f32 v38, -v38, v14, v41
	v_fma_f32 v41, -v18, v40, v20
	v_fmac_f32_e32 v26, v46, v26
	v_mul_f32_e32 v46, v35, v16
	v_fma_f32 v53, -v15, v42, 1.0
	s_mov_b32 vcc_lo, s0
	v_div_scale_f32 v37, s9, v4, v55, v4
	v_div_fmas_f32 v14, v38, v19, v14
	v_fmac_f32_e32 v40, v41, v33
	v_mul_f32_e32 v19, v11, v26
	v_fma_f32 v38, -v24, v46, v35
	v_fmac_f32_e32 v42, v53, v42
	v_fma_f32 v41, -v39, v49, 1.0
	v_div_scale_f32 v30, s2, v28, v9, v28
	v_div_scale_f32 v45, s10, v1, v7, v1
	v_div_fixup_f32 v14, v14, v7, v43
	v_fma_f32 v18, -v18, v40, v20
	v_fma_f32 v20, -v10, v19, v11
	v_fmac_f32_e32 v46, v38, v16
	v_mul_f32_e32 v38, v37, v42
	v_fmac_f32_e32 v49, v41, v49
	v_mul_f32_e32 v21, v30, v36
	s_mov_b32 vcc_lo, s1
	v_add_f32_e32 v14, v17, v14
	v_div_fmas_f32 v17, v18, v33, v40
	v_fmac_f32_e32 v19, v20, v26
	v_fma_f32 v18, -v15, v38, v37
	v_mul_f32_e32 v20, v45, v49
	v_fma_f32 v56, -v27, v21, v30
	v_div_fixup_f32 v17, v17, v7, v22
	v_fma_f32 v10, -v10, v19, v11
	v_fmac_f32_e32 v38, v18, v42
	v_fma_f32 v11, -v39, v20, v45
	v_mov_b32_dpp v18, v14 quad_perm:[1,0,3,2] row_mask:0xf bank_mask:0xf
	v_fmac_f32_e32 v21, v56, v36
	v_fma_f32 v24, -v24, v46, v35
	s_mov_b32 vcc_lo, s8
	v_mov_b32_dpp v52, v7 quad_perm:[1,0,3,2] row_mask:0xf bank_mask:0xf
	v_add_f32_e32 v17, v48, v17
	v_div_fmas_f32 v10, v10, v26, v19
	v_fma_f32 v15, -v15, v38, v37
	v_fmac_f32_e32 v20, v11, v49
	v_sub_f32_e32 v11, v14, v18
	s_mov_b32 vcc_lo, s3
	v_fma_f32 v27, -v27, v21, v30
	v_div_fmas_f32 v14, v24, v16, v46
	s_mov_b32 vcc_lo, s9
	v_add_f32_e32 v12, v7, v52
	v_div_fixup_f32 v10, v10, v9, v23
	v_div_fmas_f32 v15, v15, v42, v38
	v_fma_f32 v16, -v39, v20, v45
	v_mov_b32_dpp v19, v17 quad_perm:[1,0,3,2] row_mask:0xf bank_mask:0xf
	v_mul_f32_e32 v22, v11, v11
	v_mul_f32_e32 v23, v7, v11
	s_mov_b32 vcc_lo, s2
	v_div_fixup_f32 v13, v14, v7, v13
	v_div_fmas_f32 v14, v27, v36, v21
	s_mov_b32 vcc_lo, s10
	v_add_f32_e32 v10, v34, v10
	v_div_fixup_f32 v4, v15, v55, v4
	v_div_fmas_f32 v15, v16, v49, v20
	v_mul_f32_e32 v16, v11, v22
	v_div_scale_f32 v20, null, v12, v12, v23
	v_mul_f32_e32 v30, v22, v52
	v_mul_f32_e32 v33, v7, v19
	;; [unrolled: 1-line block ×4, first 2 shown]
	v_mul_f32_e32 v26, 4.0, v11
	v_add_f32_e32 v27, v17, v19
	v_mul_f32_e32 v19, v9, v19
	v_div_fixup_f32 v9, v14, v9, v28
	v_add_f32_e32 v10, v13, v10
	v_add_f32_e32 v4, v8, v4
	v_div_fixup_f32 v1, v15, v7, v1
	v_mul_f32_e32 v8, v11, v16
	v_rcp_f32_e32 v11, v20
	v_mul_f32_e32 v13, v7, v30
	v_mul_f32_e32 v14, v16, v52
	v_fma_f32 v15, v17, v52, -v33
	v_sub_f32_e32 v51, v52, v7
	v_fma_f32 v54, -v7, v52, v50
	v_mul_f32_e32 v22, 0x40c00000, v22
	v_fmac_f32_e32 v19, v17, v50
	v_add_f32_e32 v4, v9, v4
	v_mov_b32_dpp v9, v10 quad_perm:[1,0,3,2] row_mask:0xf bank_mask:0xf
	v_div_scale_f32 v16, null, v12, v12, v13
	v_mul_f32_e32 v14, v7, v14
	v_mul_f32_e32 v15, v24, v15
	;; [unrolled: 1-line block ×4, first 2 shown]
	v_fmac_f32_e32 v54, v7, v7
	v_mul_f32_e32 v19, v22, v19
	v_add_f32_e32 v1, v1, v4
	v_fma_f32 v4, -v20, v11, 1.0
	v_rcp_f32_e32 v22, v16
	v_mul_f32_e32 v14, v51, v14
	v_div_scale_f32 v28, null, v12, v12, v15
	v_mul_f32_e32 v8, v7, v8
	v_mul_f32_e32 v7, v7, v9
	;; [unrolled: 1-line block ×3, first 2 shown]
	v_div_scale_f32 v21, vcc_lo, v23, v12, v23
	v_add_f32_e32 v24, v10, v9
	v_div_scale_f32 v33, null, v29, v29, v19
	v_mov_b32_dpp v9, v1 quad_perm:[1,0,3,2] row_mask:0xf bank_mask:0xf
	v_fmac_f32_e32 v11, v4, v11
	v_div_scale_f32 v4, null, v29, v29, v14
	v_rcp_f32_e32 v36, v28
	v_mul_f32_e32 v8, v54, v8
	v_fma_f32 v7, v10, v52, -v7
	v_rcp_f32_e32 v37, v33
	v_mul_f32_e32 v10, v21, v11
	v_fma_f32 v38, -v16, v22, 1.0
	v_rcp_f32_e32 v39, v4
	v_add_f32_e32 v1, v1, v9
	v_div_scale_f32 v9, null, v32, v32, v8
	v_mul_f32_e32 v7, v26, v7
	v_div_scale_f32 v17, s0, v13, v12, v13
	v_fma_f32 v26, -v20, v10, v21
	v_fmac_f32_e32 v22, v38, v22
	v_fma_f32 v38, -v28, v36, 1.0
	v_rcp_f32_e32 v41, v9
	v_div_scale_f32 v43, null, v12, v12, v7
	v_div_scale_f32 v30, s1, v15, v12, v15
	v_fma_f32 v42, -v33, v37, 1.0
	v_fmac_f32_e32 v10, v26, v11
	v_mul_f32_e32 v26, v17, v22
	v_fma_f32 v46, -v4, v39, 1.0
	v_fmac_f32_e32 v36, v38, v36
	v_rcp_f32_e32 v38, v43
	v_div_scale_f32 v34, s2, v19, v29, v19
	v_div_scale_f32 v35, s3, v14, v29, v14
	v_fmac_f32_e32 v37, v42, v37
	v_fma_f32 v20, -v20, v10, v21
	v_fma_f32 v21, -v16, v26, v17
	v_fmac_f32_e32 v39, v46, v39
	v_mul_f32_e32 v42, v30, v36
	v_fma_f32 v46, -v9, v41, 1.0
	v_div_scale_f32 v40, s8, v8, v32, v8
	v_mul_f32_e32 v48, v34, v37
	v_div_fmas_f32 v10, v20, v11, v10
	v_fmac_f32_e32 v26, v21, v22
	v_mul_f32_e32 v11, v35, v39
	v_fma_f32 v20, -v28, v42, v30
	v_fmac_f32_e32 v41, v46, v41
	v_fma_f32 v46, -v43, v38, 1.0
	v_div_scale_f32 v45, s9, v7, v12, v7
	v_fma_f32 v21, -v33, v48, v34
	v_div_fixup_f32 v10, v10, v12, v23
	v_fma_f32 v16, -v16, v26, v17
	v_fma_f32 v17, -v4, v11, v35
	v_fmac_f32_e32 v42, v20, v36
	v_mul_f32_e32 v20, v40, v41
	v_fmac_f32_e32 v38, v46, v38
	s_mov_b32 vcc_lo, s0
	v_fmac_f32_e32 v48, v21, v37
	v_add_f32_e32 v10, v10, v18
	v_div_fmas_f32 v16, v16, v22, v26
	v_fmac_f32_e32 v11, v17, v39
	v_fma_f32 v18, -v9, v20, v40
	v_mul_f32_e32 v21, v45, v38
	v_fma_f32 v17, -v28, v42, v30
	v_div_fixup_f32 v13, v16, v12, v13
	v_fma_f32 v4, -v4, v11, v35
	v_fmac_f32_e32 v20, v18, v41
	v_fma_f32 v16, -v43, v21, v45
	v_mov_b32_dpp v18, v10 quad_perm:[2,3,0,1] row_mask:0xf bank_mask:0xf
	s_mov_b32 vcc_lo, s3
	v_mov_b32_dpp v25, v12 quad_perm:[2,3,0,1] row_mask:0xf bank_mask:0xf
	v_div_fmas_f32 v4, v4, v39, v11
	v_fma_f32 v9, -v9, v20, v40
	v_fmac_f32_e32 v21, v16, v38
	v_sub_f32_e32 v10, v10, v18
	s_mov_b32 vcc_lo, s1
	v_fma_f32 v22, -v33, v48, v34
	v_div_fmas_f32 v11, v17, v36, v42
	s_mov_b32 vcc_lo, s8
	v_add_f32_e32 v2, v12, v25
	v_div_fixup_f32 v4, v4, v29, v14
	v_div_fmas_f32 v9, v9, v41, v20
	v_fma_f32 v14, -v43, v21, v45
	v_mul_f32_e32 v20, v12, v10
	s_mov_b32 vcc_lo, s2
	v_div_fixup_f32 v11, v11, v12, v15
	v_div_fmas_f32 v15, v22, v37, v48
	s_mov_b32 vcc_lo, s9
	v_add_f32_e32 v13, v27, v13
	v_mul_f32_e32 v17, v10, v10
	v_div_fixup_f32 v8, v9, v32, v8
	v_div_fmas_f32 v9, v14, v38, v21
	v_div_scale_f32 v21, null, v2, v2, v20
	v_mov_b32_dpp v16, v13 quad_perm:[2,3,0,1] row_mask:0xf bank_mask:0xf
	v_add_f32_e32 v4, v24, v4
	v_mul_f32_e32 v26, v17, v25
	v_div_fixup_f32 v15, v15, v29, v19
	v_rcp_f32_e32 v19, v21
	v_mul_f32_e32 v27, v12, v16
	v_add_f32_e32 v4, v11, v4
	v_mul_f32_e32 v11, v12, v26
	v_mul_f32_e32 v14, v10, v17
	v_add_f32_e32 v1, v1, v8
	v_div_fixup_f32 v7, v9, v12, v7
	v_fma_f32 v26, v13, v25, -v27
	v_div_scale_f32 v9, null, v2, v2, v11
	v_fma_f32 v27, -v21, v19, 1.0
	v_mul_f32_e32 v23, 0x40400000, v10
	v_div_scale_f32 v22, vcc_lo, v20, v2, v20
	v_mul_f32_e32 v8, v10, v14
	v_mul_f32_e32 v14, v14, v25
	v_add_f32_e32 v1, v15, v1
	v_rcp_f32_e32 v15, v9
	v_fmac_f32_e32 v19, v27, v19
	v_sub_f32_e32 v58, v25, v12
	v_mul_f32_e32 v14, v12, v14
	v_mul_f32_e32 v23, v23, v26
	;; [unrolled: 1-line block ×6, first 2 shown]
	v_div_scale_f32 v27, s0, v11, v2, v11
	v_fma_f32 v30, -v9, v15, 1.0
	v_fma_f32 v32, -v21, v26, v22
	v_fma_f32 v47, -v12, v25, v44
	v_mul_f32_e32 v8, v8, v25
	v_add_f32_e32 v1, v7, v1
	v_div_scale_f32 v7, null, v5, v5, v14
	v_fmac_f32_e32 v15, v30, v15
	v_fmac_f32_e32 v26, v32, v19
	v_mul_f32_e32 v8, v12, v8
	v_rcp_f32_e32 v34, v7
	v_fmac_f32_e32 v47, v12, v12
	v_mul_f32_e32 v32, v27, v15
	v_fma_f32 v21, -v21, v26, v22
	v_mul_f32_e32 v31, v2, v5
	v_div_scale_f32 v30, null, v2, v2, v23
	v_fma_f32 v22, -v9, v32, v27
	v_div_fmas_f32 v19, v21, v19, v26
	v_mul_f32_e32 v8, v47, v8
	v_add_f32_e32 v24, v13, v16
	v_mul_f32_e32 v16, v29, v16
	v_fma_f32 v21, -v7, v34, 1.0
	v_rcp_f32_e32 v26, v30
	v_fmac_f32_e32 v32, v22, v15
	v_div_fixup_f32 v19, v19, v2, v20
	v_div_scale_f32 v20, null, v31, v31, v8
	v_div_scale_f32 v35, s1, v14, v5, v14
	v_fmac_f32_e32 v34, v21, v34
	v_fma_f32 v9, -v9, v32, v27
	v_rcp_f32_e32 v22, v20
	v_mul_f32_e32 v17, 0x40c00000, v17
	v_fmac_f32_e32 v16, v44, v13
	s_mov_b32 vcc_lo, s0
	v_mov_b32_dpp v28, v4 quad_perm:[2,3,0,1] row_mask:0xf bank_mask:0xf
	v_add_f32_e32 v18, v19, v18
	v_mul_f32_e32 v19, v35, v34
	v_fma_f32 v21, -v30, v26, 1.0
	v_div_fmas_f32 v9, v9, v15, v32
	v_mul_f32_e32 v15, v17, v16
	v_div_scale_f32 v16, s0, v23, v2, v23
	v_fma_f32 v13, -v7, v19, v35
	v_fmac_f32_e32 v26, v21, v26
	v_fma_f32 v17, -v20, v22, 1.0
	v_div_scale_f32 v21, null, v5, v5, v15
	v_mul_f32_e32 v12, v12, v28
	v_fmac_f32_e32 v19, v13, v34
	v_mul_f32_e32 v13, v16, v26
	v_fmac_f32_e32 v22, v17, v22
	v_rcp_f32_e32 v17, v21
	v_mul_f32_e32 v10, 4.0, v10
	v_fma_f32 v12, v4, v25, -v12
	v_div_scale_f32 v25, s2, v8, v31, v8
	v_fma_f32 v27, -v30, v13, v16
	v_add_f32_e32 v4, v4, v28
	v_mul_f32_e32 v10, v10, v12
	v_mul_f32_e32 v12, v25, v22
	v_fma_f32 v7, -v7, v19, v35
	v_fma_f32 v28, -v21, v17, 1.0
	v_fmac_f32_e32 v13, v27, v26
	v_div_scale_f32 v27, null, v2, v2, v10
	v_fma_f32 v29, -v20, v12, v25
	v_fmac_f32_e32 v17, v28, v17
	v_div_scale_f32 v28, s3, v15, v5, v15
	v_rcp_f32_e32 v32, v27
	v_fma_f32 v16, -v30, v13, v16
	s_mov_b32 vcc_lo, s1
	v_fmac_f32_e32 v12, v29, v22
	v_div_fmas_f32 v7, v7, v34, v19
	s_mov_b32 vcc_lo, s0
	v_mul_f32_e32 v19, v28, v17
	v_div_fmas_f32 v13, v16, v26, v13
	v_mov_b32_dpp v26, v18 row_ror:4 row_mask:0xf bank_mask:0xf
	v_fma_f32 v20, -v20, v12, v25
	v_fma_f32 v16, -v27, v32, 1.0
	v_fma_f32 v25, -v21, v19, v28
	v_mov_b32_dpp v29, v2 row_ror:4 row_mask:0xf bank_mask:0xf
	v_sub_f32_e32 v18, v18, v26
	s_mov_b32 vcc_lo, s2
	v_fmac_f32_e32 v32, v16, v32
	v_div_scale_f32 v16, s0, v10, v2, v10
	v_div_fmas_f32 v12, v20, v22, v12
	v_fmac_f32_e32 v19, v25, v17
	v_add_f32_e32 v20, v2, v29
	v_mul_f32_e32 v22, v2, v18
	v_mov_b32_dpp v33, v1 quad_perm:[2,3,0,1] row_mask:0xf bank_mask:0xf
	v_mul_f32_e32 v25, v16, v32
	v_div_fixup_f32 v8, v12, v31, v8
	v_fma_f32 v12, -v21, v19, v28
	v_div_scale_f32 v21, null, v20, v20, v22
	s_mov_b32 vcc_lo, s3
	v_add_f32_e32 v1, v1, v33
	v_fma_f32 v28, -v27, v25, v16
	v_div_fmas_f32 v12, v12, v17, v19
	v_rcp_f32_e32 v17, v21
	v_div_fixup_f32 v7, v7, v5, v14
	v_add_f32_e32 v1, v1, v8
	v_fmac_f32_e32 v25, v28, v32
	v_div_fixup_f32 v8, v12, v5, v15
	v_div_fixup_f32 v9, v9, v2, v11
	s_mov_b32 vcc_lo, s0
	v_add_f32_e32 v4, v4, v7
	v_fma_f32 v11, -v27, v25, v16
	v_add_f32_e32 v1, v8, v1
	v_fma_f32 v8, -v21, v17, 1.0
	v_div_fixup_f32 v7, v13, v2, v23
	v_mul_f32_e32 v12, v18, v18
	v_div_fmas_f32 v11, v11, v32, v25
	v_add_f32_e32 v9, v24, v9
	v_fmac_f32_e32 v17, v8, v17
	v_div_scale_f32 v8, vcc_lo, v22, v20, v22
	v_div_fixup_f32 v10, v11, v2, v10
	v_mul_f32_e32 v11, v12, v29
	v_add_f32_e32 v4, v7, v4
	v_mul_f32_e32 v7, v8, v17
	v_mul_f32_e32 v23, v18, v12
	v_add_f32_e32 v1, v10, v1
	v_mul_f32_e32 v10, v2, v11
	v_mov_b32_dpp v11, v6 row_ror:4 row_mask:0xf bank_mask:0xf
	v_fma_f32 v14, -v21, v7, v8
	v_mov_b32_dpp v16, v9 row_ror:4 row_mask:0xf bank_mask:0xf
	v_mov_b32_dpp v13, v3 row_ror:4 row_mask:0xf bank_mask:0xf
	v_div_scale_f32 v15, null, v20, v20, v10
	v_fmac_f32_e32 v7, v14, v17
	v_mul_f32_e32 v19, v20, v20
	v_cmp_gt_f32_e64 s0, v3, v13
	v_rcp_f32_e32 v14, v15
	v_mul_f32_e32 v28, v29, v29
	v_fma_f32 v8, -v21, v7, v8
	v_mul_f32_e32 v21, v18, v23
	v_mul_f32_e32 v23, v23, v29
	v_cndmask_b32_e64 v3, v13, v3, s0
	v_fma_f32 v32, -v2, v29, v28
	v_div_fmas_f32 v7, v8, v17, v7
	v_cmp_lt_f32_e32 vcc_lo, v6, v11
	v_mul_f32_e32 v17, v2, v23
	v_fma_f32 v8, -v15, v14, 1.0
	v_sub_f32_e32 v23, v29, v2
	v_div_fixup_f32 v7, v7, v20, v22
	v_cndmask_b32_e32 v6, v11, v6, vcc_lo
	v_mul_f32_e32 v11, v2, v16
	v_fmac_f32_e32 v14, v8, v14
	v_mul_f32_e32 v8, v23, v17
	v_div_scale_f32 v17, vcc_lo, v10, v20, v10
	v_mul_f32_e32 v23, 0x40400000, v18
	v_fma_f32 v11, v9, v29, -v11
	v_div_scale_f32 v22, null, v19, v19, v8
	v_mul_f32_e32 v13, v17, v14
	v_add_f32_e32 v7, v7, v26
	v_mul_f32_e32 v11, v23, v11
	v_rcp_f32_e32 v26, v22
	v_mul_f32_e32 v21, v21, v29
	v_fma_f32 v30, -v15, v13, v17
	v_fmac_f32_e32 v32, v2, v2
	v_div_scale_f32 v31, null, v20, v20, v11
	v_mul_f32_e32 v21, v2, v21
	v_fmac_f32_e32 v13, v30, v14
	v_mul_f32_e32 v27, v20, v19
	v_rcp_f32_e32 v33, v31
	v_fma_f32 v30, -v22, v26, 1.0
	v_mul_f32_e32 v21, v32, v21
	v_fma_f32 v15, -v15, v13, v17
	v_div_scale_f32 v17, s0, v8, v19, v8
	v_fmac_f32_e32 v26, v30, v26
	v_div_scale_f32 v30, null, v27, v27, v21
	v_div_fmas_f32 v13, v15, v14, v13
	v_fma_f32 v15, -v31, v33, 1.0
	v_mul_f32_e32 v5, v5, v16
	v_mov_b32_dpp v24, v4 row_ror:4 row_mask:0xf bank_mask:0xf
	v_mul_f32_e32 v14, v17, v26
	v_mul_f32_e32 v12, 0x40c00000, v12
	v_fmac_f32_e32 v33, v15, v33
	v_rcp_f32_e32 v15, v30
	v_fmac_f32_e32 v5, v28, v9
	v_div_fixup_f32 v10, v13, v20, v10
	v_fma_f32 v13, -v22, v14, v17
	v_mul_f32_e32 v2, v2, v24
	v_add_f32_e32 v23, v9, v16
	v_mul_f32_e32 v5, v12, v5
	v_div_scale_f32 v16, s1, v11, v20, v11
	v_fmac_f32_e32 v14, v13, v26
	v_fma_f32 v12, -v30, v15, 1.0
	v_mul_f32_e32 v13, 4.0, v18
	v_fma_f32 v2, v4, v29, -v2
	v_div_scale_f32 v18, null, v19, v19, v5
	v_add_f32_e32 v9, v23, v10
	v_mul_f32_e32 v10, v16, v33
	v_fmac_f32_e32 v15, v12, v15
	v_mul_f32_e32 v2, v13, v2
	v_rcp_f32_e32 v12, v18
	v_fma_f32 v17, -v22, v14, v17
	v_fma_f32 v22, -v31, v10, v16
	v_div_scale_f32 v13, s2, v21, v27, v21
	v_div_scale_f32 v23, null, v20, v20, v2
	s_mov_b32 vcc_lo, s0
	v_fmac_f32_e32 v10, v22, v33
	v_div_fmas_f32 v14, v17, v26, v14
	v_rcp_f32_e32 v17, v23
	v_mul_f32_e32 v22, v13, v15
	v_fma_f32 v26, -v18, v12, 1.0
	v_mov_b32_dpp v25, v1 row_ror:4 row_mask:0xf bank_mask:0xf
	v_add_f32_e32 v4, v4, v24
	v_div_fixup_f32 v8, v14, v19, v8
	v_fma_f32 v14, -v31, v10, v16
	v_fma_f32 v16, -v30, v22, v13
	v_fmac_f32_e32 v12, v26, v12
	v_div_scale_f32 v24, s0, v5, v19, v5
	s_mov_b32 vcc_lo, s1
	v_fma_f32 v26, -v23, v17, 1.0
	v_div_fmas_f32 v10, v14, v33, v10
	v_fmac_f32_e32 v22, v16, v15
	v_mul_f32_e32 v14, v24, v12
	v_add_f32_e32 v1, v1, v25
	v_mov_b32_dpp v25, v7 row_ror:8 row_mask:0xf bank_mask:0xf
	v_fmac_f32_e32 v17, v26, v17
	v_div_scale_f32 v16, s1, v2, v20, v2
	v_fma_f32 v13, -v30, v22, v13
	v_fma_f32 v26, -v18, v14, v24
	v_mov_b32_dpp v29, v20 row_ror:8 row_mask:0xf bank_mask:0xf
	v_sub_f32_e32 v7, v7, v25
	s_mov_b32 vcc_lo, s2
	v_mul_f32_e32 v28, v16, v17
	v_div_fmas_f32 v13, v13, v15, v22
	v_fmac_f32_e32 v14, v26, v12
	v_add_f32_e32 v15, v20, v29
	v_mul_f32_e32 v22, v20, v7
	v_fma_f32 v26, -v23, v28, v16
	v_div_fixup_f32 v13, v13, v27, v21
	v_fma_f32 v18, -v18, v14, v24
	s_mov_b32 vcc_lo, s0
	v_div_scale_f32 v21, null, v15, v15, v22
	v_fmac_f32_e32 v28, v26, v17
	v_div_fmas_f32 v12, v18, v12, v14
	v_add_f32_e32 v4, v4, v8
	v_rcp_f32_e32 v14, v21
	v_div_fixup_f32 v8, v10, v20, v11
	v_fma_f32 v10, -v23, v28, v16
	s_mov_b32 vcc_lo, s1
	v_add_f32_e32 v1, v1, v13
	v_div_fixup_f32 v5, v12, v19, v5
	v_mul_f32_e32 v11, v7, v7
	v_div_fmas_f32 v10, v10, v17, v28
	v_add_f32_e32 v4, v8, v4
	v_div_scale_f32 v8, vcc_lo, v22, v15, v22
	v_fma_f32 v12, -v21, v14, 1.0
	v_add_f32_e32 v1, v5, v1
	v_div_fixup_f32 v2, v10, v20, v2
	v_mul_f32_e32 v5, v11, v29
	v_mul_f32_e32 v18, v7, v11
	v_fmac_f32_e32 v14, v12, v14
	v_mov_b32_dpp v16, v9 row_ror:8 row_mask:0xf bank_mask:0xf
	v_add_f32_e32 v1, v2, v1
	v_mul_f32_e32 v2, v20, v5
	v_mov_b32_dpp v5, v6 row_ror:8 row_mask:0xf bank_mask:0xf
	v_mul_f32_e32 v12, v8, v14
	v_mul_f32_e32 v17, v15, v15
	v_mov_b32_dpp v26, v4 row_ror:8 row_mask:0xf bank_mask:0xf
	v_div_scale_f32 v13, null, v15, v15, v2
	v_fma_f32 v23, -v21, v12, v8
	v_cmp_lt_f32_e64 s0, v6, v5
	v_mul_f32_e32 v28, v15, v17
	v_rcp_f32_e32 v24, v13
	v_mul_f32_e32 v11, 0x40c00000, v11
	v_fmac_f32_e32 v12, v23, v14
	v_mul_f32_e32 v23, v7, v18
	v_mul_f32_e32 v18, v18, v29
	v_cndmask_b32_e64 v5, v5, v6, s0
	v_mov_b32_dpp v27, v1 row_ror:8 row_mask:0xf bank_mask:0xf
	v_fma_f32 v6, -v21, v12, v8
	v_sub_f32_e32 v21, v29, v20
	v_mul_f32_e32 v18, v20, v18
	v_fma_f32 v8, -v13, v24, 1.0
	v_add_f32_e32 v1, v1, v27
	v_div_fmas_f32 v6, v6, v14, v12
	v_mul_f32_e32 v12, v20, v16
	v_div_scale_f32 v14, vcc_lo, v2, v15, v2
	v_fmac_f32_e32 v24, v8, v24
	v_mul_f32_e32 v8, v21, v18
	v_mul_f32_e32 v21, 0x40400000, v7
	v_fma_f32 v12, v9, v29, -v12
	v_div_fixup_f32 v6, v6, v15, v22
	v_mul_f32_e32 v22, v29, v29
	v_mul_f32_e32 v30, v14, v24
	v_div_scale_f32 v18, null, v17, v17, v8
	v_mul_f32_e32 v12, v21, v12
	v_mul_f32_e32 v21, v23, v29
	v_fma_f32 v23, -v20, v29, v22
	v_fma_f32 v32, -v13, v30, v14
	v_rcp_f32_e32 v31, v18
	v_div_scale_f32 v33, null, v15, v15, v12
	v_mul_f32_e32 v21, v20, v21
	v_fmac_f32_e32 v23, v20, v20
	v_fmac_f32_e32 v30, v32, v24
	v_rcp_f32_e32 v32, v33
	v_add_f32_e32 v6, v6, v25
	v_mul_f32_e32 v20, v20, v26
	v_mul_f32_e32 v21, v23, v21
	v_add_f32_e32 v23, v9, v16
	v_fma_f32 v13, -v13, v30, v14
	v_mul_f32_e32 v16, v19, v16
	v_fma_f32 v25, -v18, v31, 1.0
	v_div_scale_f32 v14, null, v28, v28, v21
	v_div_scale_f32 v19, s0, v8, v17, v8
	v_fmac_f32_e32 v16, v22, v9
	v_rcp_f32_e32 v34, v14
	v_fmac_f32_e32 v31, v25, v31
	v_fma_f32 v25, -v33, v32, 1.0
	v_div_fmas_f32 v9, v13, v24, v30
	v_mul_f32_e32 v11, v11, v16
	v_div_scale_f32 v16, s1, v12, v15, v12
	v_mul_f32_e32 v13, v19, v31
	v_fmac_f32_e32 v32, v25, v32
	v_div_scale_f32 v24, null, v17, v17, v11
	v_fma_f32 v22, -v14, v34, 1.0
	v_mul_f32_e32 v7, 4.0, v7
	v_fma_f32 v20, v4, v29, -v20
	v_fma_f32 v25, -v18, v13, v19
	v_mul_f32_e32 v30, v16, v32
	v_fmac_f32_e32 v34, v22, v34
	v_rcp_f32_e32 v22, v24
	v_mul_f32_e32 v7, v7, v20
	v_div_scale_f32 v29, s2, v21, v28, v21
	v_fmac_f32_e32 v13, v25, v31
	v_fma_f32 v20, -v33, v30, v16
	v_div_scale_f32 v35, null, v15, v15, v7
	v_add_f32_e32 v4, v4, v26
	v_mul_f32_e32 v25, v29, v34
	v_fma_f32 v26, -v24, v22, 1.0
	v_fma_f32 v18, -v18, v13, v19
	v_fmac_f32_e32 v30, v20, v32
	v_rcp_f32_e32 v20, v35
	s_mov_b32 vcc_lo, s0
	v_fma_f32 v19, -v14, v25, v29
	v_fmac_f32_e32 v22, v26, v22
	v_div_scale_f32 v26, s3, v11, v17, v11
	v_div_fmas_f32 v13, v18, v31, v13
	ds_swizzle_b32 v18, v6 offset:swizzle(BROADCAST,32,15)
	v_fma_f32 v16, -v33, v30, v16
	v_fmac_f32_e32 v25, v19, v34
	v_mul_f32_e32 v19, v26, v22
	ds_swizzle_b32 v31, v15 offset:swizzle(BROADCAST,32,15)
	v_fma_f32 v33, -v35, v20, 1.0
	s_mov_b32 vcc_lo, s1
	v_fma_f32 v14, -v14, v25, v29
	v_div_fmas_f32 v16, v16, v32, v30
	v_fma_f32 v29, -v24, v19, v26
	v_fmac_f32_e32 v20, v33, v20
	v_div_scale_f32 v30, s0, v7, v15, v7
	s_mov_b32 vcc_lo, s2
	v_fmac_f32_e32 v19, v29, v22
	v_div_fmas_f32 v14, v14, v34, v25
	v_mul_f32_e32 v25, v30, v20
	s_mov_b32 vcc_lo, s3
	v_div_fixup_f32 v8, v13, v17, v8
	v_mov_b32_dpp v10, v3 row_ror:8 row_mask:0xf bank_mask:0xf
	s_waitcnt lgkmcnt(1)
	v_sub_f32_e32 v6, v6, v18
	v_div_fixup_f32 v14, v14, v28, v21
	v_fma_f32 v21, -v24, v19, v26
	v_fma_f32 v24, -v35, v25, v30
	s_waitcnt lgkmcnt(0)
	v_add_f32_e32 v26, v15, v31
	v_mul_f32_e32 v27, v15, v6
	v_add_f32_e32 v1, v1, v14
	v_div_fmas_f32 v19, v21, v22, v19
	v_fmac_f32_e32 v25, v24, v20
	s_mov_b32 vcc_lo, s0
	v_div_scale_f32 v21, null, v26, v26, v27
	v_div_fixup_f32 v11, v19, v17, v11
	v_fma_f32 v13, -v35, v25, v30
	v_add_f32_e32 v4, v4, v8
	v_rcp_f32_e32 v14, v21
	v_div_fixup_f32 v8, v16, v15, v12
	v_add_f32_e32 v1, v11, v1
	v_div_fmas_f32 v13, v13, v20, v25
	v_cmp_gt_f32_e32 vcc_lo, v3, v10
	v_div_fixup_f32 v2, v9, v15, v2
	v_add_f32_e32 v4, v8, v4
	v_mul_f32_e32 v8, v6, v6
	v_div_fixup_f32 v7, v13, v15, v7
	v_cndmask_b32_e32 v3, v10, v3, vcc_lo
	v_fma_f32 v9, -v21, v14, 1.0
	v_add_f32_e32 v2, v23, v2
	v_mul_f32_e32 v11, v8, v31
	v_add_f32_e32 v1, v7, v1
	ds_swizzle_b32 v7, v5 offset:swizzle(BROADCAST,32,15)
	v_fmac_f32_e32 v14, v9, v14
	v_div_scale_f32 v9, vcc_lo, v27, v26, v27
	ds_swizzle_b32 v10, v3 offset:swizzle(BROADCAST,32,15)
	ds_swizzle_b32 v12, v2 offset:swizzle(BROADCAST,32,15)
	v_mul_f32_e32 v11, v15, v11
	v_mul_f32_e32 v16, v9, v14
	;; [unrolled: 1-line block ×3, first 2 shown]
	v_sub_f32_e32 v29, v31, v15
	v_mul_f32_e32 v22, v26, v26
	v_div_scale_f32 v24, null, v26, v26, v11
	v_fma_f32 v23, -v21, v16, v9
	v_mul_f32_e32 v25, v20, v31
	v_mul_f32_e32 v20, v6, v20
	ds_swizzle_b32 v13, v4 offset:swizzle(BROADCAST,32,15)
	v_mul_f32_e32 v28, v26, v22
	v_fmac_f32_e32 v16, v23, v14
	v_rcp_f32_e32 v23, v24
	v_mul_f32_e32 v25, v15, v25
	s_waitcnt lgkmcnt(3)
	v_cmp_lt_f32_e64 s0, v5, v7
	v_mul_f32_e32 v20, v20, v31
	v_fma_f32 v9, -v21, v16, v9
	v_mul_f32_e32 v8, 0x40c00000, v8
	s_waitcnt lgkmcnt(1)
	v_mul_f32_e32 v17, v17, v12
	v_cndmask_b32_e64 v5, v7, v5, s0
	v_cmp_gt_f32_e64 s0, v3, v10
	v_mul_f32_e32 v7, v29, v25
	v_fma_f32 v21, -v24, v23, 1.0
	v_div_fmas_f32 v9, v9, v14, v16
	v_mul_f32_e32 v14, v31, v31
	v_cndmask_b32_e64 v3, v10, v3, s0
	v_mul_f32_e32 v10, v15, v12
	v_div_scale_f32 v25, null, v22, v22, v7
	v_mul_f32_e32 v29, 0x40400000, v6
	v_fmac_f32_e32 v23, v21, v23
	v_fma_f32 v10, v2, v31, -v10
	v_rcp_f32_e32 v16, v25
	v_fma_f32 v21, -v15, v31, v14
	v_mul_f32_e32 v20, v15, v20
	v_div_fixup_f32 v9, v9, v26, v27
	v_mul_f32_e32 v10, v29, v10
	v_div_scale_f32 v29, vcc_lo, v11, v26, v11
	v_fmac_f32_e32 v21, v15, v15
	v_fmac_f32_e32 v17, v14, v2
	v_div_scale_f32 v30, null, v26, v26, v10
	v_mul_f32_e32 v32, v29, v23
	v_fma_f32 v27, -v25, v16, 1.0
	v_mul_f32_e32 v20, v21, v20
	v_mul_f32_e32 v8, v8, v17
	v_rcp_f32_e32 v33, v30
	v_fma_f32 v21, -v24, v32, v29
	v_fmac_f32_e32 v16, v27, v16
	v_div_scale_f32 v27, null, v28, v28, v20
	s_waitcnt lgkmcnt(0)
	v_mul_f32_e32 v15, v15, v13
	v_fmac_f32_e32 v32, v21, v23
	v_div_scale_f32 v21, null, v22, v22, v8
	v_rcp_f32_e32 v35, v27
	v_mul_f32_e32 v6, 4.0, v6
	v_fma_f32 v15, v4, v31, -v15
	v_rcp_f32_e32 v37, v21
	v_div_scale_f32 v14, s0, v7, v22, v7
	v_fma_f32 v34, -v30, v33, 1.0
	v_mul_f32_e32 v6, v6, v15
	v_fma_f32 v24, -v24, v32, v29
	v_mul_f32_e32 v17, v14, v16
	v_fma_f32 v36, -v27, v35, 1.0
	v_fmac_f32_e32 v33, v34, v33
	v_div_scale_f32 v34, s1, v10, v26, v10
	v_div_scale_f32 v38, null, v26, v26, v6
	v_fmac_f32_e32 v35, v36, v35
	v_fma_f32 v36, -v21, v37, 1.0
	v_fma_f32 v29, -v25, v17, v14
	v_mul_f32_e32 v31, v34, v33
	v_div_scale_f32 v15, s2, v20, v28, v20
	v_fmac_f32_e32 v37, v36, v37
	v_rcp_f32_e32 v36, v38
	v_fmac_f32_e32 v17, v29, v16
	v_fma_f32 v29, -v30, v31, v34
	v_mul_f32_e32 v39, v15, v35
	v_div_scale_f32 v40, s3, v8, v22, v8
	v_div_fmas_f32 v23, v24, v23, v32
	v_fmac_f32_e32 v31, v29, v33
	v_fma_f32 v24, -v27, v39, v15
	ds_swizzle_b32 v19, v1 offset:swizzle(BROADCAST,32,15)
	v_fma_f32 v29, -v38, v36, 1.0
	v_fma_f32 v14, -v25, v17, v14
	v_mul_f32_e32 v25, v40, v37
	s_mov_b32 vcc_lo, s0
	v_fmac_f32_e32 v39, v24, v35
	v_fmac_f32_e32 v36, v29, v36
	v_div_scale_f32 v24, s0, v6, v26, v6
	v_div_fmas_f32 v14, v14, v16, v17
	v_fma_f32 v17, -v21, v25, v40
	v_fma_f32 v15, -v27, v39, v15
	v_mul_f32_e32 v27, v24, v36
	v_fma_f32 v16, -v30, v31, v34
	s_mov_b32 vcc_lo, s1
	v_fmac_f32_e32 v25, v17, v37
	v_add_f32_e32 v2, v2, v12
	v_fma_f32 v17, -v38, v27, v24
	v_div_fmas_f32 v16, v16, v33, v31
	s_mov_b32 vcc_lo, s2
	v_fma_f32 v12, -v21, v25, v40
	v_div_fmas_f32 v15, v15, v35, v39
	v_fmac_f32_e32 v27, v17, v36
	s_mov_b32 vcc_lo, s3
	s_waitcnt lgkmcnt(0)
	v_add_f32_e32 v1, v1, v19
	v_div_fmas_f32 v12, v12, v37, v25
	v_div_fixup_f32 v15, v15, v28, v20
	v_add_f32_e32 v4, v4, v13
	v_fma_f32 v13, -v38, v27, v24
	s_mov_b32 vcc_lo, s0
	v_div_fixup_f32 v7, v14, v22, v7
	v_add_f32_e32 v1, v1, v15
	v_div_fixup_f32 v8, v12, v22, v8
	v_div_fmas_f32 v12, v13, v36, v27
	v_div_fixup_f32 v11, v23, v26, v11
	v_add_f32_e32 v4, v4, v7
	v_div_fixup_f32 v7, v16, v26, v10
	v_add_f32_e32 v1, v8, v1
	v_div_fixup_f32 v6, v12, v26, v6
	v_mov_b32_e32 v8, 0
	v_add_f32_e32 v9, v9, v18
	v_add_f32_e32 v10, v2, v11
	;; [unrolled: 1-line block ×4, first 2 shown]
	ds_bpermute_b32 v1, v8, v26 offset:124
	ds_bpermute_b32 v2, v8, v5 offset:124
	;; [unrolled: 1-line block ×7, first 2 shown]
	v_mbcnt_lo_u32_b32 v5, -1, 0
	s_mov_b32 s0, exec_lo
	v_cmpx_eq_u32_e32 0, v5
	s_cbranch_execz .LBB17_6
; %bb.5:
	v_lshrrev_b32_e32 v6, 5, v0
	v_mul_u32_u24_e32 v6, 28, v6
	s_waitcnt lgkmcnt(5)
	ds_write2_b32 v6, v1, v2 offset0:168 offset1:169
	s_waitcnt lgkmcnt(4)
	ds_write2_b32 v6, v3, v4 offset0:170 offset1:171
	;; [unrolled: 2-line block ×3, first 2 shown]
	s_waitcnt lgkmcnt(3)
	ds_write_b32 v6, v19 offset:696
.LBB17_6:
	s_or_b32 exec_lo, exec_lo, s0
	s_mov_b32 s8, exec_lo
	s_waitcnt lgkmcnt(0)
	s_barrier
	buffer_gl0_inv
	v_cmpx_gt_u32_e32 32, v0
	s_cbranch_execz .LBB17_8
; %bb.7:
	v_and_b32_e32 v8, 7, v5
	v_lshlrev_b32_e32 v17, 2, v5
	v_mul_u32_u24_e32 v9, 28, v8
	v_cmp_ne_u32_e32 vcc_lo, 7, v8
	v_or_b32_e32 v17, 16, v17
	ds_read2_b32 v[1:2], v9 offset0:168 offset1:169
	ds_read2_b32 v[3:4], v9 offset0:170 offset1:171
	;; [unrolled: 1-line block ×3, first 2 shown]
	v_add_co_ci_u32_e64 v10, null, 0, v5, vcc_lo
	ds_read_b32 v9, v9 offset:696
	v_cmp_gt_u32_e32 vcc_lo, 6, v8
	v_lshlrev_b32_e32 v10, 2, v10
	v_cndmask_b32_e64 v8, 0, 2, vcc_lo
	v_add_lshl_u32 v5, v8, v5, 2
	s_waitcnt lgkmcnt(3)
	ds_bpermute_b32 v13, v10, v2
	s_waitcnt lgkmcnt(3)
	ds_bpermute_b32 v12, v10, v4
	ds_bpermute_b32 v14, v10, v3
	;; [unrolled: 1-line block ×3, first 2 shown]
	s_waitcnt lgkmcnt(5)
	ds_bpermute_b32 v15, v10, v6
	ds_bpermute_b32 v16, v10, v7
	s_waitcnt lgkmcnt(6)
	ds_bpermute_b32 v8, v10, v9
	v_mul_f32_e32 v10, v1, v1
	s_waitcnt lgkmcnt(6)
	v_cmp_gt_f32_e32 vcc_lo, v2, v13
	s_waitcnt lgkmcnt(5)
	v_sub_f32_e32 v12, v12, v4
	s_waitcnt lgkmcnt(3)
	v_add_f32_e32 v18, v1, v11
	v_mul_f32_e32 v20, v6, v11
	v_cndmask_b32_e32 v2, v2, v13, vcc_lo
	v_cmp_lt_f32_e32 vcc_lo, v3, v14
	v_fma_f32 v21, -v1, v11, v10
	v_mul_f32_e32 v22, v11, v11
	s_waitcnt lgkmcnt(2)
	v_mul_f32_e32 v10, v10, v15
	v_mul_f32_e32 v24, v12, v12
	v_cndmask_b32_e32 v3, v3, v14, vcc_lo
	s_waitcnt lgkmcnt(1)
	v_add_f32_e32 v14, v7, v16
	v_mul_f32_e32 v7, v7, v11
	v_mul_f32_e32 v25, v12, v11
	v_add_f32_e32 v13, v6, v15
	v_fma_f32 v15, v1, v15, -v20
	v_fmac_f32_e32 v10, v6, v22
	v_mul_f32_e32 v6, 4.0, v12
	v_fma_f32 v7, v1, v16, -v7
	v_mul_f32_e32 v20, v12, v24
	v_div_scale_f32 v22, null, v18, v18, v25
	v_mul_f32_e32 v26, 0x40400000, v12
	v_mul_f32_e32 v28, v1, v24
	;; [unrolled: 1-line block ×4, first 2 shown]
	v_rcp_f32_e32 v12, v22
	v_mul_f32_e32 v15, v26, v15
	v_mul_f32_e32 v26, v28, v11
	;; [unrolled: 1-line block ×3, first 2 shown]
	v_sub_f32_e32 v19, v1, v11
	v_mul_f32_e32 v1, v1, v7
	v_mul_f32_e32 v23, v18, v18
	v_div_scale_f32 v30, null, v18, v18, v26
	v_mul_f32_e32 v20, v20, v11
	v_fma_f32 v33, -v22, v12, 1.0
	v_fmac_f32_e32 v21, v11, v11
	v_div_scale_f32 v27, vcc_lo, v25, v18, v25
	v_rcp_f32_e32 v7, v30
	v_mul_f32_e32 v19, v19, v20
	v_mul_f32_e32 v1, v1, v11
	v_fmac_f32_e32 v12, v33, v12
	v_div_scale_f32 v28, null, v18, v18, v15
	v_div_scale_f32 v34, null, v23, v23, v19
	v_mul_f32_e32 v1, v21, v1
	v_mul_f32_e32 v21, v27, v12
	v_fma_f32 v33, -v30, v7, 1.0
	v_rcp_f32_e32 v35, v34
	v_div_scale_f32 v31, s1, v26, v18, v26
	v_fma_f32 v38, -v22, v21, v27
	v_rcp_f32_e32 v32, v28
	v_fmac_f32_e32 v7, v33, v7
	v_mul_f32_e32 v16, v18, v23
	v_div_scale_f32 v36, s2, v19, v23, v19
	v_fmac_f32_e32 v21, v38, v12
	v_mul_f32_e32 v39, v31, v7
	v_fma_f32 v40, -v34, v35, 1.0
	v_mul_f32_e32 v24, 0x40c00000, v24
	v_div_scale_f32 v29, s0, v15, v18, v15
	v_fma_f32 v22, -v22, v21, v27
	v_fma_f32 v33, -v28, v32, 1.0
	v_fma_f32 v38, -v30, v39, v31
	v_fmac_f32_e32 v35, v40, v35
	v_div_scale_f32 v37, null, v16, v16, v1
	v_div_fmas_f32 v12, v22, v12, v21
	v_fmac_f32_e32 v32, v33, v32
	v_fmac_f32_e32 v39, v38, v7
	v_mul_f32_e32 v27, v36, v35
	v_mul_f32_e32 v10, v24, v10
	v_div_fixup_f32 v12, v12, v18, v25
	v_rcp_f32_e32 v33, v37
	v_mul_f32_e32 v21, v29, v32
	v_fma_f32 v30, -v30, v39, v31
	v_fma_f32 v31, -v34, v27, v36
	v_add_f32_e32 v4, v4, v12
	s_mov_b32 vcc_lo, s1
	v_div_scale_f32 v20, null, v23, v23, v10
	v_div_fmas_f32 v7, v30, v7, v39
	v_fmac_f32_e32 v27, v31, v35
	v_fma_f32 v25, -v28, v21, v29
	ds_bpermute_b32 v30, v5, v4
	v_div_scale_f32 v24, null, v18, v18, v6
	v_rcp_f32_e32 v11, v20
	v_fma_f32 v22, -v37, v33, 1.0
	v_fma_f32 v12, -v34, v27, v36
	v_fmac_f32_e32 v21, v25, v32
	ds_bpermute_b32 v25, v5, v18
	s_mov_b32 vcc_lo, s2
	v_div_scale_f32 v40, s3, v1, v16, v1
	v_fmac_f32_e32 v33, v22, v33
	v_div_fixup_f32 v7, v7, v18, v26
	v_rcp_f32_e32 v26, v24
	v_div_fmas_f32 v12, v12, v35, v27
	v_fma_f32 v22, -v20, v11, 1.0
	v_mul_f32_e32 v27, v40, v33
	s_mov_b32 vcc_lo, s0
	s_waitcnt lgkmcnt(2)
	v_add_f32_e32 v8, v9, v8
	v_div_fixup_f32 v12, v12, v23, v19
	v_fma_f32 v19, -v28, v21, v29
	v_fmac_f32_e32 v11, v22, v11
	v_div_scale_f32 v22, s1, v10, v23, v10
	v_fma_f32 v31, -v24, v26, 1.0
	v_fma_f32 v28, -v37, v27, v40
	v_div_fmas_f32 v19, v19, v32, v21
	s_waitcnt lgkmcnt(1)
	v_sub_f32_e32 v21, v30, v4
	v_mul_f32_e32 v29, v22, v11
	v_fmac_f32_e32 v26, v31, v26
	v_div_scale_f32 v31, s2, v6, v18, v6
	v_fmac_f32_e32 v27, v28, v33
	s_waitcnt lgkmcnt(0)
	v_add_f32_e32 v32, v18, v25
	v_mul_f32_e32 v34, v21, v25
	v_fma_f32 v28, -v20, v29, v22
	v_mul_f32_e32 v30, v31, v26
	v_fma_f32 v35, -v37, v27, v40
	s_mov_b32 vcc_lo, s3
	v_div_scale_f32 v36, null, v32, v32, v34
	v_fmac_f32_e32 v29, v28, v11
	v_fma_f32 v28, -v24, v30, v31
	v_div_fmas_f32 v27, v35, v33, v27
	v_rcp_f32_e32 v9, v36
	s_mov_b32 vcc_lo, s1
	v_fma_f32 v20, -v20, v29, v22
	v_fmac_f32_e32 v30, v28, v26
	v_div_fixup_f32 v1, v27, v16, v1
	v_add_f32_e32 v12, v14, v12
	v_div_fixup_f32 v14, v19, v18, v15
	v_div_fmas_f32 v11, v20, v11, v29
	v_fma_f32 v16, -v24, v30, v31
	v_add_f32_e32 v1, v8, v1
	v_fma_f32 v20, -v36, v9, 1.0
	v_mul_f32_e32 v8, v21, v21
	s_mov_b32 vcc_lo, s2
	v_div_fixup_f32 v10, v11, v23, v10
	v_div_fmas_f32 v16, v16, v26, v30
	v_fmac_f32_e32 v9, v20, v9
	v_div_scale_f32 v11, vcc_lo, v34, v32, v34
	v_mul_f32_e32 v15, v18, v8
	v_add_f32_e32 v1, v10, v1
	v_div_fixup_f32 v6, v16, v18, v6
	v_mul_f32_e32 v10, v11, v9
	v_add_f32_e32 v7, v13, v7
	v_mul_f32_e32 v13, v15, v25
	v_add_f32_e32 v12, v14, v12
	v_add_f32_e32 v1, v6, v1
	v_fma_f32 v6, -v36, v10, v11
	ds_bpermute_b32 v19, v5, v7
	v_div_scale_f32 v14, null, v32, v32, v13
	v_mul_f32_e32 v20, v21, v8
	v_fmac_f32_e32 v10, v6, v9
	ds_bpermute_b32 v15, v5, v2
	v_rcp_f32_e32 v6, v14
	v_mul_f32_e32 v29, 0x40400000, v21
	v_mul_f32_e32 v26, v18, v20
	v_fma_f32 v11, -v36, v10, v11
	v_mul_f32_e32 v20, v21, v20
	v_mul_f32_e32 v24, v32, v32
	ds_bpermute_b32 v22, v5, v12
	v_mul_f32_e32 v8, 0x40c00000, v8
	v_div_fmas_f32 v9, v11, v9, v10
	v_mul_f32_e32 v11, v26, v25
	v_fma_f32 v10, -v14, v6, 1.0
	v_sub_f32_e32 v26, v18, v25
	v_mul_f32_e32 v20, v18, v20
	v_div_fixup_f32 v9, v9, v32, v34
	v_mul_f32_e32 v27, v32, v24
	v_fmac_f32_e32 v6, v10, v6
	v_mul_f32_e32 v10, v26, v11
	v_mul_f32_e32 v11, v7, v25
	v_div_scale_f32 v26, vcc_lo, v13, v32, v13
	v_add_f32_e32 v4, v4, v9
	v_div_scale_f32 v28, null, v24, v24, v10
	s_waitcnt lgkmcnt(2)
	v_fma_f32 v11, v18, v19, -v11
	v_mul_f32_e32 v9, v26, v6
	s_waitcnt lgkmcnt(1)
	v_cmp_gt_f32_e64 s0, v2, v15
	v_mul_f32_e32 v20, v20, v25
	v_add_f32_e32 v33, v7, v19
	v_mul_f32_e32 v11, v29, v11
	v_fma_f32 v29, -v18, v25, v23
	v_fma_f32 v30, -v14, v9, v26
	v_cndmask_b32_e64 v2, v2, v15, s0
	v_rcp_f32_e32 v15, v28
	v_mul_f32_e32 v19, v23, v19
	v_fmac_f32_e32 v29, v25, v25
	v_fmac_f32_e32 v9, v30, v6
	v_div_scale_f32 v31, null, v32, v32, v11
	v_div_scale_f32 v23, s0, v10, v24, v10
	v_mul_f32_e32 v20, v29, v20
	v_fma_f32 v14, -v14, v9, v26
	v_mul_f32_e32 v26, v25, v25
	v_fma_f32 v30, -v28, v15, 1.0
	v_rcp_f32_e32 v34, v31
	v_div_scale_f32 v29, null, v27, v27, v20
	v_fmac_f32_e32 v19, v26, v7
	v_fmac_f32_e32 v15, v30, v15
	v_div_fmas_f32 v6, v14, v6, v9
	v_rcp_f32_e32 v35, v29
	v_mul_f32_e32 v25, v12, v25
	v_mul_f32_e32 v8, v8, v19
	;; [unrolled: 1-line block ×3, first 2 shown]
	v_fma_f32 v30, -v31, v34, 1.0
	v_mul_f32_e32 v21, 4.0, v21
	s_waitcnt lgkmcnt(0)
	v_fma_f32 v18, v18, v22, -v25
	v_div_scale_f32 v19, null, v24, v24, v8
	v_fma_f32 v26, -v28, v7, v23
	v_fma_f32 v14, -v29, v35, 1.0
	v_fmac_f32_e32 v34, v30, v34
	v_div_scale_f32 v9, s1, v11, v32, v11
	v_fmac_f32_e32 v7, v26, v15
	v_fmac_f32_e32 v35, v14, v35
	v_rcp_f32_e32 v14, v19
	v_mul_f32_e32 v18, v21, v18
	v_mul_f32_e32 v30, v9, v34
	v_div_scale_f32 v25, s2, v20, v27, v20
	v_fma_f32 v23, -v28, v7, v23
	v_div_scale_f32 v36, null, v32, v32, v18
	s_mov_b32 vcc_lo, s0
	v_add_f32_e32 v12, v12, v22
	v_fma_f32 v26, -v19, v14, 1.0
	v_fma_f32 v21, -v31, v30, v9
	v_mul_f32_e32 v22, v25, v35
	v_div_fmas_f32 v7, v23, v15, v7
	ds_bpermute_b32 v15, v17, v4
	v_fmac_f32_e32 v14, v26, v14
	v_rcp_f32_e32 v26, v36
	ds_bpermute_b32 v16, v5, v3
	ds_bpermute_b32 v5, v5, v1
	v_fmac_f32_e32 v30, v21, v34
	v_fma_f32 v21, -v29, v22, v25
	v_div_scale_f32 v28, s3, v8, v24, v8
	ds_bpermute_b32 v23, v17, v32
	v_fma_f32 v9, -v31, v30, v9
	v_fmac_f32_e32 v22, v21, v35
	v_mul_f32_e32 v21, v28, v14
	v_fma_f32 v31, -v36, v26, 1.0
	s_mov_b32 vcc_lo, s1
	v_div_fixup_f32 v7, v7, v24, v10
	v_div_fmas_f32 v9, v9, v34, v30
	v_fma_f32 v25, -v29, v22, v25
	v_fma_f32 v29, -v19, v21, v28
	v_fmac_f32_e32 v26, v31, v26
	v_div_scale_f32 v30, s0, v18, v32, v18
	s_mov_b32 vcc_lo, s2
	v_fmac_f32_e32 v21, v29, v14
	v_div_fmas_f32 v22, v25, v35, v22
	v_mul_f32_e32 v25, v30, v26
	s_waitcnt lgkmcnt(3)
	v_sub_f32_e32 v15, v15, v4
	s_waitcnt lgkmcnt(1)
	v_add_f32_e32 v5, v1, v5
	v_fma_f32 v19, -v19, v21, v28
	v_div_fixup_f32 v20, v22, v27, v20
	v_fma_f32 v22, -v36, v25, v30
	s_waitcnt lgkmcnt(0)
	v_add_f32_e32 v1, v32, v23
	v_mul_f32_e32 v27, v15, v23
	s_mov_b32 vcc_lo, s3
	v_add_f32_e32 v5, v5, v20
	v_div_fmas_f32 v14, v19, v14, v21
	v_fmac_f32_e32 v25, v22, v26
	v_div_scale_f32 v19, null, v1, v1, v27
	s_mov_b32 vcc_lo, s0
	v_div_fixup_f32 v8, v14, v24, v8
	v_fma_f32 v10, -v36, v25, v30
	v_rcp_f32_e32 v14, v19
	v_add_f32_e32 v7, v12, v7
	v_div_fixup_f32 v9, v9, v32, v11
	v_add_f32_e32 v5, v8, v5
	v_div_fmas_f32 v10, v10, v26, v25
	v_cmp_lt_f32_e32 vcc_lo, v3, v16
	v_div_fixup_f32 v6, v6, v32, v13
	v_add_f32_e32 v7, v9, v7
	v_sub_f32_e32 v29, v32, v23
	v_div_fixup_f32 v8, v10, v32, v18
	v_fma_f32 v10, -v19, v14, 1.0
	v_cndmask_b32_e32 v3, v3, v16, vcc_lo
	v_div_scale_f32 v9, vcc_lo, v27, v1, v27
	v_add_f32_e32 v6, v33, v6
	v_fmac_f32_e32 v14, v10, v14
	ds_bpermute_b32 v10, v17, v2
	v_add_f32_e32 v5, v8, v5
	v_mul_f32_e32 v8, v15, v15
	ds_bpermute_b32 v13, v17, v6
	v_mul_f32_e32 v16, v9, v14
	v_mul_f32_e32 v21, v1, v1
	ds_bpermute_b32 v18, v17, v7
	v_mul_f32_e32 v11, v32, v8
	v_mul_f32_e32 v20, v15, v8
	v_fma_f32 v22, -v19, v16, v9
	v_mul_f32_e32 v28, v1, v21
	v_mul_f32_e32 v8, 0x40c00000, v8
	;; [unrolled: 1-line block ×4, first 2 shown]
	v_fmac_f32_e32 v16, v22, v14
	v_mul_f32_e32 v20, v15, v20
	ds_bpermute_b32 v12, v17, v3
	v_div_scale_f32 v25, null, v1, v1, v11
	v_fma_f32 v9, -v19, v16, v9
	v_mul_f32_e32 v26, v26, v23
	s_waitcnt lgkmcnt(3)
	v_cmp_gt_f32_e64 s0, v2, v10
	v_rcp_f32_e32 v22, v25
	v_mul_f32_e32 v20, v32, v20
	v_div_fmas_f32 v9, v9, v14, v16
	v_mul_f32_e32 v14, v6, v23
	v_cndmask_b32_e64 v2, v2, v10, s0
	v_mul_f32_e32 v10, v29, v26
	v_mul_f32_e32 v26, 0x40400000, v15
	;; [unrolled: 1-line block ×3, first 2 shown]
	s_waitcnt lgkmcnt(2)
	v_fma_f32 v14, v32, v13, -v14
	v_div_fixup_f32 v9, v9, v1, v27
	v_div_scale_f32 v19, null, v21, v21, v10
	v_fma_f32 v16, -v25, v22, 1.0
	v_mul_f32_e32 v14, v26, v14
	v_fma_f32 v26, -v32, v23, v24
	v_rcp_f32_e32 v29, v19
	v_mul_f32_e32 v24, v24, v13
	v_fmac_f32_e32 v22, v16, v22
	v_div_scale_f32 v16, vcc_lo, v11, v1, v11
	v_fmac_f32_e32 v26, v23, v23
	v_div_scale_f32 v31, null, v1, v1, v14
	v_mul_f32_e32 v30, v16, v22
	v_mul_f32_e32 v15, 4.0, v15
	v_mul_f32_e32 v20, v26, v20
	v_mul_f32_e32 v26, v23, v23
	v_fma_f32 v33, -v19, v29, 1.0
	v_fma_f32 v27, -v25, v30, v16
	v_mul_f32_e32 v23, v7, v23
	v_rcp_f32_e32 v34, v31
	v_fmac_f32_e32 v24, v26, v6
	v_fmac_f32_e32 v29, v33, v29
	v_div_scale_f32 v33, null, v28, v28, v20
	v_fmac_f32_e32 v30, v27, v22
	v_mul_f32_e32 v8, v8, v24
	s_waitcnt lgkmcnt(1)
	v_fma_f32 v23, v32, v18, -v23
	v_rcp_f32_e32 v36, v33
	v_div_scale_f32 v26, s0, v10, v21, v10
	v_div_scale_f32 v27, null, v21, v21, v8
	v_mul_f32_e32 v15, v15, v23
	v_fma_f32 v35, -v31, v34, 1.0
	v_mul_f32_e32 v24, v26, v29
	v_rcp_f32_e32 v38, v27
	v_fma_f32 v16, -v25, v30, v16
	v_fma_f32 v37, -v33, v36, 1.0
	v_div_scale_f32 v39, null, v1, v1, v15
	v_fmac_f32_e32 v34, v35, v34
	v_div_scale_f32 v35, s1, v14, v1, v14
	v_fmac_f32_e32 v36, v37, v36
	v_fma_f32 v25, -v19, v24, v26
	v_fma_f32 v37, -v27, v38, 1.0
	v_div_scale_f32 v23, s2, v20, v28, v20
	v_mul_f32_e32 v32, v35, v34
	v_fmac_f32_e32 v24, v25, v29
	v_fmac_f32_e32 v38, v37, v38
	v_rcp_f32_e32 v37, v39
	v_mul_f32_e32 v40, v23, v36
	v_fma_f32 v25, -v31, v32, v35
	v_div_scale_f32 v41, s3, v8, v21, v8
	v_div_fmas_f32 v16, v16, v22, v30
	v_fma_f32 v19, -v19, v24, v26
	v_fma_f32 v22, -v33, v40, v23
	v_fmac_f32_e32 v32, v25, v34
	ds_bpermute_b32 v17, v17, v5
	v_fma_f32 v26, -v39, v37, 1.0
	v_mul_f32_e32 v25, v41, v38
	s_mov_b32 vcc_lo, s0
	v_fmac_f32_e32 v40, v22, v36
	v_div_fmas_f32 v19, v19, v29, v24
	v_fmac_f32_e32 v37, v26, v37
	v_div_scale_f32 v26, s0, v15, v1, v15
	v_fma_f32 v24, -v31, v32, v35
	v_fma_f32 v22, -v27, v25, v41
	;; [unrolled: 1-line block ×3, first 2 shown]
	v_mul_f32_e32 v29, v26, v37
	s_mov_b32 vcc_lo, s1
	v_add_f32_e32 v6, v6, v13
	v_div_fmas_f32 v24, v24, v34, v32
	s_mov_b32 vcc_lo, s2
	v_fmac_f32_e32 v25, v22, v38
	v_div_fmas_f32 v22, v23, v36, v40
	v_fma_f32 v23, -v39, v29, v26
	s_mov_b32 vcc_lo, s3
	s_waitcnt lgkmcnt(0)
	v_add_f32_e32 v5, v5, v17
	v_fma_f32 v13, -v27, v25, v41
	v_div_fixup_f32 v17, v22, v28, v20
	v_fmac_f32_e32 v29, v23, v37
	v_add_f32_e32 v7, v7, v18
	v_div_fixup_f32 v10, v19, v21, v10
	v_div_fmas_f32 v13, v13, v38, v25
	s_mov_b32 vcc_lo, s0
	v_fma_f32 v18, -v39, v29, v26
	v_add_f32_e32 v5, v5, v17
	v_div_fixup_f32 v11, v16, v1, v11
	v_div_fixup_f32 v8, v13, v21, v8
	v_add_f32_e32 v7, v7, v10
	v_div_fmas_f32 v13, v18, v37, v29
	v_div_fixup_f32 v10, v24, v1, v14
	v_cmp_lt_f32_e32 vcc_lo, v3, v12
	v_add_f32_e32 v5, v8, v5
	v_add_f32_e32 v4, v4, v9
	v_div_fixup_f32 v8, v13, v1, v15
	v_add_f32_e32 v17, v6, v11
	v_cndmask_b32_e32 v3, v3, v12, vcc_lo
	v_add_f32_e32 v18, v10, v7
	v_add_f32_e32 v19, v8, v5
.LBB17_8:
	s_or_b32 exec_lo, exec_lo, s8
	s_branch .LBB17_53
.LBB17_9:
	s_mov_b32 s19, 0
                                        ; implicit-def: $vgpr14
                                        ; implicit-def: $vgpr8
	s_cbranch_execnz .LBB17_90
	s_branch .LBB17_98
.LBB17_10:
	s_mov_b32 s11, -1
.LBB17_11:
	s_mov_b32 s19, 0
                                        ; implicit-def: $vgpr14
                                        ; implicit-def: $vgpr8
	s_and_b32 vcc_lo, exec_lo, s11
	s_cbranch_vccz .LBB17_58
.LBB17_12:
	s_cmp_eq_u32 s26, 2
	s_cbranch_scc0 .LBB17_19
; %bb.13:
	s_lshl_b32 s24, s6, 9
	s_mul_i32 s2, s6, 0x3800
	s_lshr_b64 s[0:1], s[22:23], 9
	s_mul_hi_u32 s3, s24, 28
	s_mov_b32 s7, 0
	s_add_u32 s10, s20, s2
	s_addc_u32 s11, s21, s3
	s_cmp_lg_u64 s[0:1], s[6:7]
	s_cbranch_scc0 .LBB17_59
; %bb.14:
	s_waitcnt lgkmcnt(5)
	v_mad_u64_u32 v[10:11], null, v0, 28, s[10:11]
	s_waitcnt lgkmcnt(4)
	v_add_co_u32 v5, vcc_lo, 0x1800, v10
	v_add_co_ci_u32_e64 v6, null, 0, v11, vcc_lo
	v_add_co_u32 v15, vcc_lo, 0x1c00, v10
	global_load_dwordx4 v[1:4], v[10:11], off
	s_waitcnt lgkmcnt(0)
	global_load_dwordx4 v[6:9], v[5:6], off offset:1024
	v_add_co_ci_u32_e64 v16, null, 0, v11, vcc_lo
	s_clause 0x1
	global_load_dwordx3 v[12:14], v[10:11], off offset:16
	global_load_dwordx3 v[15:17], v[15:16], off offset:16
	s_waitcnt vmcnt(3)
	v_mul_f32_e32 v18, v1, v1
	s_waitcnt vmcnt(2)
	v_cmp_lt_f32_e32 vcc_lo, v7, v2
	v_sub_f32_e32 v9, v9, v4
	v_add_f32_e32 v5, v1, v6
	v_mul_f32_e32 v19, v6, v6
	v_fma_f32 v24, -v1, v6, v18
	v_cndmask_b32_e32 v7, v2, v7, vcc_lo
	v_cmp_lt_f32_e32 vcc_lo, v3, v8
	s_waitcnt vmcnt(0)
	v_add_f32_e32 v11, v12, v15
	v_add_f32_e32 v10, v13, v16
	v_mul_f32_e32 v2, v6, v9
	v_mov_b32_dpp v23, v7 quad_perm:[1,0,3,2] row_mask:0xf bank_mask:0xf
	v_cndmask_b32_e32 v20, v3, v8, vcc_lo
	v_mul_f32_e32 v3, v12, v6
	v_add_f32_e32 v8, v14, v17
	v_mul_f32_e32 v17, v13, v6
	v_mul_f32_e32 v14, v18, v15
	;; [unrolled: 1-line block ×3, first 2 shown]
	v_fma_f32 v3, v1, v15, -v3
	v_mul_f32_e32 v15, 4.0, v9
	v_fma_f32 v16, v1, v16, -v17
	v_mov_b32_dpp v25, v20 quad_perm:[1,0,3,2] row_mask:0xf bank_mask:0xf
	v_cmp_lt_f32_e64 s0, v7, v23
	v_mul_f32_e32 v27, v1, v18
	v_mul_f32_e32 v26, v9, v18
	;; [unrolled: 1-line block ×3, first 2 shown]
	v_div_scale_f32 v35, null, v5, v5, v2
	v_cndmask_b32_e64 v15, v23, v7, s0
	v_cmp_gt_f32_e64 s0, v20, v25
	v_mul_f32_e32 v33, v6, v27
	v_mul_f32_e32 v21, 0x40400000, v9
	;; [unrolled: 1-line block ×3, first 2 shown]
	v_mov_b32_dpp v27, v15 quad_perm:[2,3,0,1] row_mask:0xf bank_mask:0xf
	v_cndmask_b32_e64 v20, v25, v20, s0
	v_rcp_f32_e32 v9, v35
	v_fmac_f32_e32 v14, v12, v19
	v_div_scale_f32 v36, vcc_lo, v2, v5, v2
	v_mov_b32_dpp v30, v20 quad_perm:[2,3,0,1] row_mask:0xf bank_mask:0xf
	v_cmp_lt_f32_e64 s8, v15, v27
	v_mul_f32_e32 v19, v21, v3
	v_mul_f32_e32 v18, 0x40c00000, v18
	;; [unrolled: 1-line block ×4, first 2 shown]
	v_cndmask_b32_e64 v15, v27, v15, s8
	v_cmp_gt_f32_e64 s8, v20, v30
	v_div_scale_f32 v26, null, v5, v5, v19
	v_mul_f32_e32 v29, v18, v14
	v_mov_b32_dpp v49, v15 row_ror:4 row_mask:0xf bank_mask:0xf
	v_cndmask_b32_e64 v32, v30, v20, s8
	v_fma_f32 v30, -v35, v9, 1.0
	v_div_scale_f32 v38, null, v5, v5, v16
	v_cmp_lt_f32_e64 s9, v15, v49
	v_sub_f32_e32 v22, v1, v6
	v_fmac_f32_e32 v9, v30, v9
	v_div_scale_f32 v40, null, v5, v5, v33
	v_mul_f32_e32 v31, v6, v23
	v_rcp_f32_e32 v42, v26
	v_mul_f32_e32 v55, v36, v9
	v_mul_f32_e32 v1, v1, v7
	v_div_scale_f32 v43, null, v13, v13, v29
	v_rcp_f32_e32 v45, v38
	v_cndmask_b32_e64 v15, v49, v15, s9
	v_fma_f32 v49, -v35, v55, v36
	v_fmac_f32_e32 v24, v6, v6
	v_rcp_f32_e32 v46, v40
	v_mul_f32_e32 v47, v22, v31
	v_mul_f32_e32 v1, v6, v1
	v_rcp_f32_e32 v48, v43
	v_fmac_f32_e32 v55, v49, v9
	v_mul_f32_e32 v17, v5, v13
	v_div_scale_f32 v51, null, v13, v13, v47
	v_fma_f32 v53, -v26, v42, 1.0
	v_mul_f32_e32 v54, v24, v1
	v_fma_f32 v24, -v38, v45, 1.0
	v_fma_f32 v35, -v35, v55, v36
	v_div_scale_f32 v37, s1, v19, v5, v19
	v_div_scale_f32 v39, s0, v16, v5, v16
	v_fma_f32 v56, -v40, v46, 1.0
	v_rcp_f32_e32 v49, v51
	v_fmac_f32_e32 v42, v53, v42
	v_div_scale_f32 v53, null, v17, v17, v54
	v_fmac_f32_e32 v45, v24, v45
	v_fma_f32 v57, -v43, v48, 1.0
	v_div_fmas_f32 v9, v35, v9, v55
	v_mov_b32_dpp v35, v15 row_ror:8 row_mask:0xf bank_mask:0xf
	v_div_scale_f32 v41, s3, v33, v5, v33
	v_div_scale_f32 v44, s2, v29, v13, v29
	v_fmac_f32_e32 v46, v56, v46
	v_mul_f32_e32 v55, v37, v42
	v_fmac_f32_e32 v48, v57, v48
	v_rcp_f32_e32 v56, v53
	v_div_fixup_f32 v2, v9, v5, v2
	v_mul_f32_e32 v57, v39, v45
	v_cmp_lt_f32_e32 vcc_lo, v15, v35
	v_mov_b32_dpp v50, v32 row_ror:4 row_mask:0xf bank_mask:0xf
	v_mul_f32_e32 v58, v44, v48
	v_div_scale_f32 v52, s8, v47, v13, v47
	v_cndmask_b32_e32 v9, v35, v15, vcc_lo
	v_fma_f32 v15, -v51, v49, 1.0
	v_add_f32_e32 v35, v4, v2
	v_mul_f32_e32 v2, v41, v46
	v_fma_f32 v4, -v26, v55, v37
	v_fma_f32 v59, -v38, v57, v39
	v_cmp_gt_f32_e64 s9, v32, v50
	v_fmac_f32_e32 v49, v15, v49
	v_fma_f32 v15, -v40, v2, v41
	v_fmac_f32_e32 v55, v4, v42
	v_fmac_f32_e32 v57, v59, v45
	v_fma_f32 v4, -v53, v56, 1.0
	v_fma_f32 v59, -v43, v58, v44
	v_cndmask_b32_e64 v1, v50, v32, s9
	v_div_scale_f32 v36, s9, v54, v17, v54
	v_fmac_f32_e32 v2, v15, v46
	v_fmac_f32_e32 v56, v4, v56
	;; [unrolled: 1-line block ×3, first 2 shown]
	v_mul_f32_e32 v59, v52, v49
	v_fma_f32 v38, -v38, v57, v39
	v_fma_f32 v4, -v40, v2, v41
	v_mul_f32_e32 v41, v36, v56
	s_mov_b32 vcc_lo, s3
	v_fma_f32 v39, -v51, v59, v52
	v_fma_f32 v43, -v43, v58, v44
	v_div_fmas_f32 v4, v4, v46, v2
	v_fma_f32 v44, -v53, v41, v36
	v_fma_f32 v37, -v26, v55, v37
	v_fmac_f32_e32 v59, v39, v49
	s_mov_b32 vcc_lo, s8
	v_div_fixup_f32 v46, v4, v5, v33
	v_fmac_f32_e32 v41, v44, v56
	v_mov_b32_dpp v12, v5 quad_perm:[1,0,3,2] row_mask:0xf bank_mask:0xf
	v_fma_f32 v33, -v51, v59, v52
	v_mov_b32_dpp v51, v35 quad_perm:[1,0,3,2] row_mask:0xf bank_mask:0xf
	v_add_f32_e32 v11, v11, v46
	v_fma_f32 v36, -v53, v41, v36
	v_add_f32_e32 v3, v5, v12
	v_div_fmas_f32 v49, v33, v49, v59
	v_sub_f32_e32 v35, v35, v51
	s_mov_b32 vcc_lo, s1
	v_mul_f32_e32 v28, v12, v12
	v_div_fmas_f32 v37, v37, v42, v55
	s_mov_b32 vcc_lo, s9
	v_div_fixup_f32 v42, v49, v13, v47
	v_div_fmas_f32 v36, v36, v56, v41
	v_mul_f32_e32 v46, v35, v35
	v_mul_f32_e32 v47, v5, v35
	s_mov_b32 vcc_lo, s2
	v_mov_b32_dpp v41, v11 quad_perm:[1,0,3,2] row_mask:0xf bank_mask:0xf
	v_div_fixup_f32 v19, v37, v5, v19
	v_div_fmas_f32 v37, v43, v48, v58
	v_add_f32_e32 v10, v10, v42
	v_div_fixup_f32 v17, v36, v17, v54
	v_div_scale_f32 v42, null, v3, v3, v47
	v_mul_f32_e32 v48, v46, v12
	s_mov_b32 vcc_lo, s0
	v_mul_f32_e32 v36, v35, v46
	v_div_fmas_f32 v38, v38, v45, v57
	v_add_f32_e32 v45, v11, v41
	v_mul_f32_e32 v53, v5, v41
	v_mul_f32_e32 v41, v13, v41
	v_div_fixup_f32 v13, v37, v13, v29
	v_add_f32_e32 v10, v19, v10
	v_add_f32_e32 v8, v8, v17
	v_rcp_f32_e32 v19, v42
	v_mul_f32_e32 v29, v5, v48
	v_mul_f32_e32 v46, 0x40c00000, v46
	v_div_fixup_f32 v16, v38, v5, v16
	v_mul_f32_e32 v17, v35, v36
	v_fmac_f32_e32 v41, v11, v28
	v_add_f32_e32 v8, v13, v8
	v_div_scale_f32 v13, null, v3, v3, v29
	v_mul_f32_e32 v14, v3, v3
	v_fma_f32 v25, -v5, v12, v28
	v_mul_f32_e32 v49, 0x40400000, v35
	v_mul_f32_e32 v52, 4.0, v35
	v_mul_f32_e32 v35, v36, v12
	v_fma_f32 v36, v11, v12, -v53
	v_mov_b32_dpp v11, v10 quad_perm:[1,0,3,2] row_mask:0xf bank_mask:0xf
	v_mul_f32_e32 v17, v17, v12
	v_mul_f32_e32 v37, v46, v41
	v_add_f32_e32 v8, v16, v8
	v_fma_f32 v16, -v42, v19, 1.0
	v_rcp_f32_e32 v38, v13
	v_sub_f32_e32 v21, v12, v5
	v_fmac_f32_e32 v25, v5, v5
	v_div_scale_f32 v43, vcc_lo, v47, v3, v47
	v_mul_f32_e32 v35, v5, v35
	v_mul_f32_e32 v36, v49, v36
	;; [unrolled: 1-line block ×3, first 2 shown]
	v_div_scale_f32 v48, null, v14, v14, v37
	v_mul_f32_e32 v5, v5, v11
	v_fmac_f32_e32 v19, v16, v19
	v_add_f32_e32 v41, v10, v11
	v_mul_f32_e32 v21, v21, v35
	v_div_scale_f32 v35, null, v3, v3, v36
	v_mul_f32_e32 v17, v25, v17
	v_rcp_f32_e32 v25, v48
	v_fma_f32 v5, v10, v12, -v5
	v_mul_f32_e32 v10, v43, v19
	v_fma_f32 v12, -v13, v38, 1.0
	v_mul_f32_e32 v23, v3, v14
	v_div_scale_f32 v28, s0, v29, v3, v29
	v_mov_b32_dpp v11, v8 quad_perm:[1,0,3,2] row_mask:0xf bank_mask:0xf
	v_div_scale_f32 v16, null, v14, v14, v21
	v_rcp_f32_e32 v54, v35
	v_mul_f32_e32 v5, v52, v5
	v_fma_f32 v52, -v42, v10, v43
	v_fmac_f32_e32 v38, v12, v38
	v_rcp_f32_e32 v55, v16
	v_add_f32_e32 v8, v8, v11
	v_div_scale_f32 v11, null, v23, v23, v17
	v_fma_f32 v57, -v48, v25, 1.0
	v_fmac_f32_e32 v10, v52, v19
	v_mul_f32_e32 v52, v28, v38
	v_fma_f32 v12, -v35, v54, 1.0
	v_rcp_f32_e32 v56, v11
	v_fmac_f32_e32 v25, v57, v25
	v_fma_f32 v42, -v42, v10, v43
	v_fma_f32 v43, -v13, v52, v28
	v_div_scale_f32 v57, null, v3, v3, v5
	v_div_scale_f32 v46, s1, v36, v3, v36
	v_div_scale_f32 v49, s2, v37, v14, v37
	v_fmac_f32_e32 v54, v12, v54
	v_fma_f32 v12, -v16, v55, 1.0
	v_fmac_f32_e32 v52, v43, v38
	v_rcp_f32_e32 v43, v57
	v_div_scale_f32 v53, s3, v21, v14, v21
	v_fmac_f32_e32 v55, v12, v55
	v_div_fmas_f32 v10, v42, v19, v10
	v_mul_f32_e32 v19, v46, v54
	v_fma_f32 v13, -v13, v52, v28
	v_fma_f32 v28, -v11, v56, 1.0
	v_mul_f32_e32 v42, v49, v25
	s_mov_b32 vcc_lo, s0
	v_div_scale_f32 v12, s8, v17, v23, v17
	v_div_fmas_f32 v13, v13, v38, v52
	v_mul_f32_e32 v38, v53, v55
	v_fma_f32 v52, -v35, v19, v46
	v_fmac_f32_e32 v56, v28, v56
	v_fma_f32 v28, -v48, v42, v49
	v_div_fixup_f32 v10, v10, v3, v47
	v_fma_f32 v47, -v57, v43, 1.0
	v_fmac_f32_e32 v19, v52, v54
	v_fma_f32 v52, -v16, v38, v53
	v_fmac_f32_e32 v42, v28, v25
	v_mul_f32_e32 v28, v12, v56
	v_fmac_f32_e32 v43, v47, v43
	v_div_scale_f32 v47, s0, v5, v3, v5
	v_add_f32_e32 v10, v10, v51
	v_fmac_f32_e32 v38, v52, v55
	v_fma_f32 v35, -v35, v19, v46
	v_fma_f32 v46, -v11, v28, v12
	v_mul_f32_e32 v51, v47, v43
	v_div_fixup_f32 v13, v13, v3, v29
	v_fma_f32 v16, -v16, v38, v53
	s_mov_b32 vcc_lo, s3
	v_fmac_f32_e32 v28, v46, v56
	v_fma_f32 v29, -v57, v51, v47
	v_mov_b32_dpp v46, v10 quad_perm:[2,3,0,1] row_mask:0xf bank_mask:0xf
	v_mov_b32_dpp v18, v3 quad_perm:[2,3,0,1] row_mask:0xf bank_mask:0xf
	v_add_f32_e32 v13, v45, v13
	v_div_fmas_f32 v16, v16, v55, v38
	v_fma_f32 v11, -v11, v28, v12
	v_fmac_f32_e32 v51, v29, v43
	v_sub_f32_e32 v10, v10, v46
	s_mov_b32 vcc_lo, s1
	v_fma_f32 v48, -v48, v42, v49
	v_div_fmas_f32 v12, v35, v54, v19
	s_mov_b32 vcc_lo, s8
	v_add_f32_e32 v7, v3, v18
	v_div_fixup_f32 v16, v16, v14, v21
	v_div_fmas_f32 v11, v11, v56, v28
	v_fma_f32 v19, -v57, v51, v47
	v_mov_b32_dpp v21, v13 quad_perm:[2,3,0,1] row_mask:0xf bank_mask:0xf
	v_mul_f32_e32 v28, v10, v10
	v_mul_f32_e32 v29, v3, v10
	s_mov_b32 vcc_lo, s2
	v_div_fixup_f32 v12, v12, v3, v36
	v_div_fmas_f32 v25, v48, v25, v42
	s_mov_b32 vcc_lo, s0
	v_add_f32_e32 v16, v41, v16
	v_div_fixup_f32 v11, v11, v23, v17
	v_div_fmas_f32 v17, v19, v43, v51
	v_mul_f32_e32 v19, v10, v28
	v_div_scale_f32 v23, null, v7, v7, v29
	v_mul_f32_e32 v42, v28, v18
	v_mul_f32_e32 v43, v3, v21
	;; [unrolled: 1-line block ×4, first 2 shown]
	v_mul_f32_e32 v38, 4.0, v10
	v_add_f32_e32 v41, v13, v21
	v_mul_f32_e32 v21, v14, v21
	v_div_fixup_f32 v14, v25, v14, v37
	v_add_f32_e32 v12, v12, v16
	v_add_f32_e32 v8, v8, v11
	v_div_fixup_f32 v5, v17, v3, v5
	v_mul_f32_e32 v10, v10, v19
	v_rcp_f32_e32 v11, v23
	v_mul_f32_e32 v16, v3, v42
	v_mul_f32_e32 v17, v19, v18
	v_fma_f32 v19, v13, v18, -v43
	v_sub_f32_e32 v27, v18, v3
	v_fma_f32 v31, -v3, v18, v34
	v_mul_f32_e32 v28, 0x40c00000, v28
	v_fmac_f32_e32 v21, v34, v13
	v_add_f32_e32 v8, v14, v8
	v_mov_b32_dpp v13, v12 quad_perm:[2,3,0,1] row_mask:0xf bank_mask:0xf
	v_div_scale_f32 v14, null, v7, v7, v16
	v_mul_f32_e32 v17, v3, v17
	v_mul_f32_e32 v19, v35, v19
	v_mul_f32_e32 v10, v10, v18
	v_mul_f32_e32 v20, v7, v7
	v_fmac_f32_e32 v31, v3, v3
	v_mul_f32_e32 v21, v28, v21
	v_add_f32_e32 v5, v5, v8
	v_fma_f32 v8, -v23, v11, 1.0
	v_rcp_f32_e32 v28, v14
	v_mul_f32_e32 v17, v27, v17
	v_div_scale_f32 v27, null, v7, v7, v19
	v_mul_f32_e32 v10, v3, v10
	v_mul_f32_e32 v3, v3, v13
	;; [unrolled: 1-line block ×3, first 2 shown]
	v_div_scale_f32 v36, vcc_lo, v29, v7, v29
	v_add_f32_e32 v34, v12, v13
	v_div_scale_f32 v37, null, v20, v20, v21
	v_mov_b32_dpp v13, v5 quad_perm:[2,3,0,1] row_mask:0xf bank_mask:0xf
	v_fmac_f32_e32 v11, v8, v11
	v_div_scale_f32 v8, null, v20, v20, v17
	v_rcp_f32_e32 v45, v27
	v_mul_f32_e32 v10, v31, v10
	v_fma_f32 v3, v12, v18, -v3
	v_rcp_f32_e32 v31, v37
	v_mul_f32_e32 v12, v36, v11
	v_fma_f32 v18, -v14, v28, 1.0
	v_rcp_f32_e32 v47, v8
	v_add_f32_e32 v5, v5, v13
	v_div_scale_f32 v13, null, v30, v30, v10
	v_mul_f32_e32 v3, v38, v3
	v_div_scale_f32 v25, s0, v16, v7, v16
	v_fma_f32 v38, -v23, v12, v36
	v_fmac_f32_e32 v28, v18, v28
	v_fma_f32 v18, -v27, v45, 1.0
	v_rcp_f32_e32 v49, v13
	v_div_scale_f32 v52, null, v7, v7, v3
	v_div_scale_f32 v35, s1, v19, v7, v19
	v_fma_f32 v51, -v37, v31, 1.0
	v_fmac_f32_e32 v12, v38, v11
	v_mul_f32_e32 v38, v25, v28
	v_fma_f32 v54, -v8, v47, 1.0
	v_fmac_f32_e32 v45, v18, v45
	v_rcp_f32_e32 v18, v52
	v_div_scale_f32 v43, s3, v17, v20, v17
	v_fmac_f32_e32 v31, v51, v31
	v_fma_f32 v23, -v23, v12, v36
	v_fma_f32 v36, -v14, v38, v25
	v_fmac_f32_e32 v47, v54, v47
	v_mul_f32_e32 v51, v35, v45
	v_fma_f32 v54, -v13, v49, 1.0
	v_div_scale_f32 v48, s8, v10, v30, v10
	v_div_fmas_f32 v11, v23, v11, v12
	v_fmac_f32_e32 v38, v36, v28
	v_mul_f32_e32 v12, v43, v47
	v_fma_f32 v23, -v27, v51, v35
	v_fmac_f32_e32 v49, v54, v49
	v_fma_f32 v54, -v52, v18, 1.0
	v_div_scale_f32 v42, s2, v21, v20, v21
	v_div_scale_f32 v53, s9, v3, v7, v3
	v_div_fixup_f32 v11, v11, v7, v29
	v_fma_f32 v14, -v14, v38, v25
	v_fma_f32 v25, -v8, v12, v43
	v_fmac_f32_e32 v51, v23, v45
	v_mul_f32_e32 v23, v48, v49
	v_fmac_f32_e32 v18, v54, v18
	v_mul_f32_e32 v55, v42, v31
	s_mov_b32 vcc_lo, s0
	v_add_f32_e32 v11, v11, v46
	v_div_fmas_f32 v14, v14, v28, v38
	v_fmac_f32_e32 v12, v25, v47
	v_fma_f32 v25, -v27, v51, v35
	v_fma_f32 v27, -v13, v23, v48
	v_mul_f32_e32 v28, v53, v18
	v_fma_f32 v36, -v37, v55, v42
	v_div_fixup_f32 v14, v14, v7, v16
	v_fma_f32 v8, -v8, v12, v43
	v_fmac_f32_e32 v23, v27, v49
	v_fma_f32 v16, -v52, v28, v53
	v_mov_b32_dpp v27, v11 row_ror:4 row_mask:0xf bank_mask:0xf
	v_fmac_f32_e32 v55, v36, v31
	s_mov_b32 vcc_lo, s3
	v_mov_b32_dpp v22, v7 row_ror:4 row_mask:0xf bank_mask:0xf
	v_add_f32_e32 v14, v41, v14
	v_div_fmas_f32 v8, v8, v47, v12
	v_fma_f32 v12, -v13, v23, v48
	v_fmac_f32_e32 v28, v16, v18
	v_sub_f32_e32 v11, v11, v27
	s_mov_b32 vcc_lo, s1
	v_fma_f32 v29, -v37, v55, v42
	v_div_fmas_f32 v13, v25, v45, v51
	s_mov_b32 vcc_lo, s8
	v_add_f32_e32 v6, v7, v22
	v_div_fixup_f32 v8, v8, v20, v17
	v_div_fmas_f32 v12, v12, v49, v23
	v_fma_f32 v16, -v52, v28, v53
	v_mov_b32_dpp v17, v14 row_ror:4 row_mask:0xf bank_mask:0xf
	v_mul_f32_e32 v23, v11, v11
	v_mul_f32_e32 v25, v7, v11
	s_mov_b32 vcc_lo, s2
	v_div_fixup_f32 v13, v13, v7, v19
	v_div_fmas_f32 v19, v29, v31, v55
	s_mov_b32 vcc_lo, s9
	v_add_f32_e32 v8, v34, v8
	v_div_fixup_f32 v10, v12, v30, v10
	v_div_fmas_f32 v12, v16, v18, v28
	v_mul_f32_e32 v16, v11, v23
	v_div_scale_f32 v18, null, v6, v6, v25
	v_mul_f32_e32 v30, v23, v22
	v_mul_f32_e32 v31, v7, v17
	v_mul_f32_e32 v50, v22, v22
	v_mul_f32_e32 v35, 0x40400000, v11
	v_mul_f32_e32 v36, 4.0, v11
	v_add_f32_e32 v29, v14, v17
	v_mul_f32_e32 v17, v20, v17
	v_div_fixup_f32 v19, v19, v20, v21
	v_add_f32_e32 v8, v13, v8
	v_add_f32_e32 v5, v5, v10
	v_div_fixup_f32 v3, v12, v7, v3
	v_mul_f32_e32 v10, v11, v16
	v_rcp_f32_e32 v11, v18
	v_mul_f32_e32 v12, v7, v30
	v_mul_f32_e32 v13, v16, v22
	v_fma_f32 v16, v14, v22, -v31
	v_sub_f32_e32 v32, v22, v7
	v_fma_f32 v60, -v7, v22, v50
	v_mul_f32_e32 v23, 0x40c00000, v23
	v_fmac_f32_e32 v17, v50, v14
	v_add_f32_e32 v5, v19, v5
	v_mov_b32_dpp v14, v8 row_ror:4 row_mask:0xf bank_mask:0xf
	v_div_scale_f32 v19, null, v6, v6, v12
	v_mul_f32_e32 v13, v7, v13
	v_mul_f32_e32 v16, v35, v16
	;; [unrolled: 1-line block ×4, first 2 shown]
	v_fmac_f32_e32 v60, v7, v7
	v_mul_f32_e32 v17, v23, v17
	v_add_f32_e32 v3, v3, v5
	v_fma_f32 v5, -v18, v11, 1.0
	v_rcp_f32_e32 v21, v19
	v_mul_f32_e32 v13, v32, v13
	v_div_scale_f32 v30, null, v6, v6, v16
	v_mul_f32_e32 v10, v7, v10
	v_mul_f32_e32 v7, v7, v14
	;; [unrolled: 1-line block ×3, first 2 shown]
	v_div_scale_f32 v28, vcc_lo, v25, v6, v25
	v_add_f32_e32 v23, v8, v14
	v_div_scale_f32 v32, null, v24, v24, v17
	v_mov_b32_dpp v14, v3 row_ror:4 row_mask:0xf bank_mask:0xf
	v_fmac_f32_e32 v11, v5, v11
	v_div_scale_f32 v5, null, v24, v24, v13
	v_rcp_f32_e32 v37, v30
	v_mul_f32_e32 v10, v60, v10
	v_fma_f32 v7, v8, v22, -v7
	v_rcp_f32_e32 v38, v32
	v_mul_f32_e32 v8, v28, v11
	v_fma_f32 v22, -v19, v21, 1.0
	v_rcp_f32_e32 v41, v5
	v_add_f32_e32 v3, v3, v14
	v_div_scale_f32 v14, null, v40, v40, v10
	v_mul_f32_e32 v7, v36, v7
	v_div_scale_f32 v20, s0, v12, v6, v12
	v_fma_f32 v36, -v18, v8, v28
	v_fmac_f32_e32 v21, v22, v21
	v_fma_f32 v22, -v30, v37, 1.0
	v_rcp_f32_e32 v43, v14
	v_div_scale_f32 v46, null, v6, v6, v7
	v_div_scale_f32 v31, s1, v16, v6, v16
	v_fma_f32 v45, -v32, v38, 1.0
	v_fmac_f32_e32 v8, v36, v11
	v_mul_f32_e32 v36, v20, v21
	v_fma_f32 v48, -v5, v41, 1.0
	v_fmac_f32_e32 v37, v22, v37
	v_rcp_f32_e32 v22, v46
	v_div_scale_f32 v35, s3, v13, v24, v13
	v_fmac_f32_e32 v38, v45, v38
	v_fma_f32 v18, -v18, v8, v28
	v_fma_f32 v28, -v19, v36, v20
	v_fmac_f32_e32 v41, v48, v41
	v_mul_f32_e32 v45, v31, v37
	v_fma_f32 v48, -v14, v43, 1.0
	v_div_scale_f32 v42, s8, v10, v40, v10
	v_div_fmas_f32 v8, v18, v11, v8
	v_fmac_f32_e32 v36, v28, v21
	v_mul_f32_e32 v11, v35, v41
	v_fma_f32 v18, -v30, v45, v31
	v_fmac_f32_e32 v43, v48, v43
	v_fma_f32 v48, -v46, v22, 1.0
	v_div_scale_f32 v34, s2, v17, v24, v17
	v_div_scale_f32 v47, s9, v7, v6, v7
	v_div_fixup_f32 v8, v8, v6, v25
	v_fma_f32 v19, -v19, v36, v20
	v_fma_f32 v20, -v5, v11, v35
	v_fmac_f32_e32 v45, v18, v37
	v_mul_f32_e32 v18, v42, v43
	v_fmac_f32_e32 v22, v48, v22
	v_mul_f32_e32 v49, v34, v38
	s_mov_b32 vcc_lo, s0
	v_add_f32_e32 v8, v8, v27
	v_div_fmas_f32 v19, v19, v21, v36
	v_fmac_f32_e32 v11, v20, v41
	v_fma_f32 v21, -v14, v18, v42
	v_mul_f32_e32 v25, v47, v22
	v_fma_f32 v28, -v32, v49, v34
	v_div_fixup_f32 v12, v19, v6, v12
	v_fma_f32 v5, -v5, v11, v35
	v_fmac_f32_e32 v18, v21, v43
	v_fma_f32 v19, -v46, v25, v47
	v_mov_b32_dpp v21, v8 row_ror:8 row_mask:0xf bank_mask:0xf
	v_fmac_f32_e32 v49, v28, v38
	v_fma_f32 v20, -v30, v45, v31
	s_mov_b32 vcc_lo, s3
	v_mov_b32_dpp v26, v6 row_ror:8 row_mask:0xf bank_mask:0xf
	v_div_fmas_f32 v5, v5, v41, v11
	v_fma_f32 v11, -v14, v18, v42
	v_fmac_f32_e32 v25, v19, v22
	v_sub_f32_e32 v8, v8, v21
	s_mov_b32 vcc_lo, s1
	v_fma_f32 v27, -v32, v49, v34
	v_div_fmas_f32 v14, v20, v37, v45
	s_mov_b32 vcc_lo, s8
	v_add_f32_e32 v2, v6, v26
	v_div_fixup_f32 v5, v5, v24, v13
	v_div_fmas_f32 v11, v11, v43, v18
	v_fma_f32 v13, -v46, v25, v47
	v_mul_f32_e32 v20, v6, v8
	s_mov_b32 vcc_lo, s2
	v_div_fixup_f32 v14, v14, v6, v16
	v_div_fmas_f32 v16, v27, v38, v49
	s_mov_b32 vcc_lo, s9
	v_add_f32_e32 v12, v29, v12
	v_mul_f32_e32 v19, v8, v8
	v_div_fixup_f32 v10, v11, v40, v10
	v_div_fmas_f32 v11, v13, v22, v25
	v_div_scale_f32 v22, null, v2, v2, v20
	v_mov_b32_dpp v18, v12 row_ror:8 row_mask:0xf bank_mask:0xf
	v_add_f32_e32 v5, v23, v5
	v_mul_f32_e32 v27, v19, v26
	v_div_fixup_f32 v16, v16, v24, v17
	v_add_f32_e32 v3, v3, v10
	v_div_fixup_f32 v7, v11, v6, v7
	v_rcp_f32_e32 v11, v22
	v_mul_f32_e32 v39, v26, v26
	v_mul_f32_e32 v13, v8, v19
	v_add_f32_e32 v25, v12, v18
	v_mul_f32_e32 v29, v6, v18
	v_mul_f32_e32 v18, v24, v18
	v_add_f32_e32 v5, v14, v5
	v_mul_f32_e32 v14, v6, v27
	v_add_f32_e32 v3, v16, v3
	v_mul_f32_e32 v19, 0x40c00000, v19
	v_mul_f32_e32 v10, v8, v13
	;; [unrolled: 1-line block ×3, first 2 shown]
	v_fmac_f32_e32 v18, v39, v12
	v_div_scale_f32 v16, null, v2, v2, v14
	v_add_f32_e32 v3, v7, v3
	v_fma_f32 v7, -v22, v11, 1.0
	v_sub_f32_e32 v61, v26, v6
	v_fma_f32 v44, -v6, v26, v39
	v_div_scale_f32 v23, vcc_lo, v20, v2, v20
	v_mul_f32_e32 v13, v6, v13
	v_mul_f32_e32 v10, v10, v26
	;; [unrolled: 1-line block ×3, first 2 shown]
	v_rcp_f32_e32 v19, v16
	v_fmac_f32_e32 v11, v7, v11
	v_mul_f32_e32 v4, v2, v2
	v_fmac_f32_e32 v44, v6, v6
	v_fma_f32 v17, v12, v26, -v29
	v_mul_f32_e32 v13, v61, v13
	v_mul_f32_e32 v10, v6, v10
	;; [unrolled: 1-line block ×5, first 2 shown]
	v_div_scale_f32 v30, null, v4, v4, v13
	v_fma_f32 v31, -v16, v19, 1.0
	v_mul_f32_e32 v10, v44, v10
	v_fma_f32 v34, -v22, v29, v23
	v_div_scale_f32 v24, s0, v14, v2, v14
	v_mul_f32_e32 v17, v28, v17
	v_rcp_f32_e32 v35, v30
	v_fmac_f32_e32 v19, v31, v19
	v_div_scale_f32 v31, null, v33, v33, v10
	v_fmac_f32_e32 v29, v34, v11
	v_div_scale_f32 v27, null, v2, v2, v17
	v_mul_f32_e32 v36, v24, v19
	v_rcp_f32_e32 v38, v31
	v_fma_f32 v22, -v22, v29, v23
	v_mov_b32_dpp v12, v5 row_ror:8 row_mask:0xf bank_mask:0xf
	v_rcp_f32_e32 v32, v27
	v_fma_f32 v23, -v30, v35, 1.0
	v_fma_f32 v39, -v16, v36, v24
	v_div_fmas_f32 v11, v22, v11, v29
	v_div_scale_f32 v28, null, v4, v4, v18
	v_div_scale_f32 v22, s2, v13, v4, v13
	v_fmac_f32_e32 v36, v39, v19
	v_fmac_f32_e32 v35, v23, v35
	v_div_fixup_f32 v11, v11, v2, v20
	v_fma_f32 v20, -v31, v38, 1.0
	v_mul_f32_e32 v6, v6, v12
	v_fma_f32 v37, -v27, v32, 1.0
	v_fma_f32 v16, -v16, v36, v24
	v_mul_f32_e32 v23, v22, v35
	v_fmac_f32_e32 v38, v20, v38
	v_rcp_f32_e32 v20, v28
	v_mul_f32_e32 v8, 4.0, v8
	v_fma_f32 v6, v5, v26, -v6
	s_mov_b32 vcc_lo, s0
	v_div_scale_f32 v7, s1, v17, v2, v17
	v_fmac_f32_e32 v32, v37, v32
	v_div_fmas_f32 v16, v16, v19, v36
	v_fma_f32 v19, -v30, v23, v22
	v_mul_f32_e32 v6, v8, v6
	v_add_f32_e32 v11, v11, v21
	v_mul_f32_e32 v21, v7, v32
	v_div_scale_f32 v24, s0, v10, v33, v10
	v_fmac_f32_e32 v23, v19, v35
	v_fma_f32 v19, -v28, v20, 1.0
	v_div_scale_f32 v26, null, v2, v2, v6
	v_add_f32_e32 v5, v5, v12
	v_fma_f32 v8, -v27, v21, v7
	v_mul_f32_e32 v12, v24, v38
	v_fmac_f32_e32 v20, v19, v20
	v_rcp_f32_e32 v19, v26
	v_fma_f32 v22, -v30, v23, v22
	v_fmac_f32_e32 v21, v8, v32
	v_fma_f32 v8, -v31, v12, v24
	s_mov_b32 vcc_lo, s2
	v_div_scale_f32 v29, s3, v18, v4, v18
	v_div_fmas_f32 v22, v22, v35, v23
	ds_swizzle_b32 v23, v11 offset:swizzle(BROADCAST,32,15)
	v_fma_f32 v7, -v27, v21, v7
	v_fmac_f32_e32 v12, v8, v38
	v_fma_f32 v30, -v26, v19, 1.0
	s_mov_b32 vcc_lo, s1
	v_mul_f32_e32 v8, v29, v20
	ds_swizzle_b32 v27, v2 offset:swizzle(BROADCAST,32,15)
	v_div_fmas_f32 v7, v7, v32, v21
	v_fma_f32 v21, -v31, v12, v24
	v_fmac_f32_e32 v19, v30, v19
	v_div_scale_f32 v30, s1, v6, v2, v6
	s_mov_b32 vcc_lo, s0
	v_fma_f32 v24, -v28, v8, v29
	v_div_fmas_f32 v12, v21, v38, v12
	v_mul_f32_e32 v21, v30, v19
	v_mov_b32_dpp v34, v3 row_ror:8 row_mask:0xf bank_mask:0xf
	s_mov_b32 vcc_lo, s3
	v_fmac_f32_e32 v8, v24, v20
	v_div_fixup_f32 v10, v12, v33, v10
	v_fma_f32 v24, -v26, v21, v30
	v_add_f32_e32 v3, v3, v34
	s_waitcnt lgkmcnt(1)
	v_sub_f32_e32 v11, v11, v23
	v_fma_f32 v12, -v28, v8, v29
	v_mov_b32_dpp v15, v1 row_ror:8 row_mask:0xf bank_mask:0xf
	v_fmac_f32_e32 v21, v24, v19
	s_waitcnt lgkmcnt(0)
	v_add_f32_e32 v28, v2, v27
	v_mul_f32_e32 v29, v2, v11
	v_div_fmas_f32 v8, v12, v20, v8
	v_add_f32_e32 v3, v3, v10
	v_fma_f32 v10, -v26, v21, v30
	s_mov_b32 vcc_lo, s1
	v_div_scale_f32 v12, null, v28, v28, v29
	v_div_fixup_f32 v8, v8, v4, v18
	v_div_fmas_f32 v10, v10, v19, v21
	v_div_fixup_f32 v13, v22, v4, v13
	v_rcp_f32_e32 v18, v12
	v_cmp_gt_f32_e32 vcc_lo, v1, v15
	v_add_f32_e32 v3, v8, v3
	v_div_fixup_f32 v6, v10, v2, v6
	v_add_f32_e32 v5, v5, v13
	v_div_fixup_f32 v7, v7, v2, v17
	v_cndmask_b32_e32 v1, v15, v1, vcc_lo
	v_div_fixup_f32 v14, v16, v2, v14
	v_add_f32_e32 v3, v6, v3
	ds_swizzle_b32 v6, v9 offset:swizzle(BROADCAST,32,15)
	v_fma_f32 v10, -v12, v18, 1.0
	v_add_f32_e32 v5, v7, v5
	v_mul_f32_e32 v7, v11, v11
	ds_swizzle_b32 v13, v1 offset:swizzle(BROADCAST,32,15)
	v_add_f32_e32 v8, v25, v14
	v_fmac_f32_e32 v18, v10, v18
	v_div_scale_f32 v10, vcc_lo, v29, v28, v29
	v_mul_f32_e32 v14, v7, v27
	ds_swizzle_b32 v15, v8 offset:swizzle(BROADCAST,32,15)
	v_mul_f32_e32 v20, v11, v7
	v_mul_f32_e32 v17, v10, v18
	v_sub_f32_e32 v30, v27, v2
	v_mul_f32_e32 v14, v2, v14
	v_mul_f32_e32 v21, v28, v28
	v_mul_f32_e32 v25, v20, v27
	v_fma_f32 v22, -v12, v17, v10
	v_mul_f32_e32 v20, v11, v20
	v_div_scale_f32 v24, null, v28, v28, v14
	s_waitcnt lgkmcnt(2)
	v_cmp_lt_f32_e64 s0, v9, v6
	v_fmac_f32_e32 v17, v22, v18
	v_mul_f32_e32 v25, v2, v25
	v_rcp_f32_e32 v22, v24
	ds_swizzle_b32 v16, v5 offset:swizzle(BROADCAST,32,15)
	v_cndmask_b32_e64 v6, v6, v9, s0
	s_waitcnt lgkmcnt(2)
	v_cmp_gt_f32_e64 s0, v1, v13
	v_fma_f32 v10, -v12, v17, v10
	v_mul_f32_e32 v26, v28, v21
	s_waitcnt lgkmcnt(1)
	v_mul_f32_e32 v12, v2, v15
	v_mul_f32_e32 v4, v4, v15
	v_cndmask_b32_e64 v9, v13, v1, s0
	v_mul_f32_e32 v1, v30, v25
	v_fma_f32 v13, -v24, v22, 1.0
	v_div_fmas_f32 v10, v10, v18, v17
	v_mul_f32_e32 v17, v27, v27
	v_mul_f32_e32 v30, 0x40400000, v11
	v_div_scale_f32 v25, null, v21, v21, v1
	v_fma_f32 v12, v8, v27, -v12
	v_fmac_f32_e32 v22, v13, v22
	v_mul_f32_e32 v18, v20, v27
	v_rcp_f32_e32 v13, v25
	v_fma_f32 v20, -v2, v27, v17
	v_mul_f32_e32 v12, v30, v12
	v_div_scale_f32 v30, vcc_lo, v14, v28, v14
	v_mul_f32_e32 v18, v2, v18
	v_fmac_f32_e32 v20, v2, v2
	v_div_fixup_f32 v10, v10, v28, v29
	v_mul_f32_e32 v32, v30, v22
	v_mul_f32_e32 v7, 0x40c00000, v7
	v_fma_f32 v29, -v25, v13, 1.0
	v_mul_f32_e32 v18, v20, v18
	v_fmac_f32_e32 v4, v17, v8
	v_div_scale_f32 v31, null, v28, v28, v12
	v_fma_f32 v20, -v24, v32, v30
	v_fmac_f32_e32 v13, v29, v13
	v_div_scale_f32 v29, null, v26, v26, v18
	v_mul_f32_e32 v4, v7, v4
	v_rcp_f32_e32 v33, v31
	v_fmac_f32_e32 v32, v20, v22
	v_rcp_f32_e32 v35, v29
	s_waitcnt lgkmcnt(0)
	v_mul_f32_e32 v2, v2, v16
	v_div_scale_f32 v20, null, v21, v21, v4
	v_mul_f32_e32 v11, 4.0, v11
	v_div_scale_f32 v17, s0, v1, v21, v1
	v_rcp_f32_e32 v37, v20
	v_fma_f32 v2, v5, v27, -v2
	v_fma_f32 v34, -v31, v33, 1.0
	v_fma_f32 v36, -v29, v35, 1.0
	v_mul_f32_e32 v7, v17, v13
	v_fma_f32 v24, -v24, v32, v30
	v_mul_f32_e32 v2, v11, v2
	v_fmac_f32_e32 v33, v34, v33
	v_div_scale_f32 v34, s1, v12, v28, v12
	v_fmac_f32_e32 v35, v36, v35
	v_fma_f32 v36, -v20, v37, 1.0
	v_div_scale_f32 v38, null, v28, v28, v2
	v_fma_f32 v27, -v25, v7, v17
	v_mul_f32_e32 v30, v34, v33
	v_div_scale_f32 v11, s2, v18, v26, v18
	v_fmac_f32_e32 v37, v36, v37
	v_rcp_f32_e32 v36, v38
	v_fmac_f32_e32 v7, v27, v13
	v_fma_f32 v27, -v31, v30, v34
	v_mul_f32_e32 v39, v11, v35
	v_div_scale_f32 v40, s3, v4, v21, v4
	v_div_fmas_f32 v22, v24, v22, v32
	v_fmac_f32_e32 v30, v27, v33
	v_fma_f32 v24, -v29, v39, v11
	ds_swizzle_b32 v19, v3 offset:swizzle(BROADCAST,32,15)
	v_fma_f32 v27, -v38, v36, 1.0
	v_fma_f32 v17, -v25, v7, v17
	v_mul_f32_e32 v25, v40, v37
	s_mov_b32 vcc_lo, s0
	v_fmac_f32_e32 v39, v24, v35
	v_fmac_f32_e32 v36, v27, v36
	v_div_scale_f32 v24, s0, v2, v28, v2
	v_div_fmas_f32 v7, v17, v13, v7
	v_fma_f32 v17, -v20, v25, v40
	v_fma_f32 v13, -v31, v30, v34
	v_mul_f32_e32 v27, v24, v36
	v_fma_f32 v11, -v29, v39, v11
	s_mov_b32 vcc_lo, s1
	v_fmac_f32_e32 v25, v17, v37
	v_div_fmas_f32 v13, v13, v33, v30
	v_fma_f32 v17, -v38, v27, v24
	s_mov_b32 vcc_lo, s2
	v_add_f32_e32 v8, v8, v15
	v_div_fmas_f32 v11, v11, v35, v39
	v_fma_f32 v15, -v20, v25, v40
	v_fmac_f32_e32 v27, v17, v36
	s_mov_b32 vcc_lo, s3
	s_waitcnt lgkmcnt(0)
	v_add_f32_e32 v3, v3, v19
	v_div_fixup_f32 v11, v11, v26, v18
	v_div_fmas_f32 v15, v15, v37, v25
	v_div_fixup_f32 v1, v7, v21, v1
	v_fma_f32 v7, -v38, v27, v24
	s_mov_b32 vcc_lo, s0
	v_add_f32_e32 v5, v5, v16
	v_add_f32_e32 v3, v3, v11
	v_div_fixup_f32 v4, v15, v21, v4
	v_div_fmas_f32 v7, v7, v36, v27
	v_div_fixup_f32 v11, v22, v28, v14
	v_add_f32_e32 v1, v5, v1
	v_div_fixup_f32 v5, v13, v28, v12
	v_add_f32_e32 v3, v4, v3
	v_div_fixup_f32 v2, v7, v28, v2
	v_mov_b32_e32 v7, 0
	v_add_f32_e32 v4, v10, v23
	v_add_f32_e32 v8, v8, v11
	;; [unrolled: 1-line block ×4, first 2 shown]
	ds_bpermute_b32 v1, v7, v28 offset:124
	ds_bpermute_b32 v2, v7, v6 offset:124
	;; [unrolled: 1-line block ×7, first 2 shown]
	v_mbcnt_lo_u32_b32 v5, -1, 0
	s_mov_b32 s0, exec_lo
	v_cmpx_eq_u32_e32 0, v5
	s_cbranch_execz .LBB17_16
; %bb.15:
	v_lshrrev_b32_e32 v6, 5, v0
	v_mul_u32_u24_e32 v6, 28, v6
	s_waitcnt lgkmcnt(5)
	ds_write2_b32 v6, v1, v2 offset0:112 offset1:113
	s_waitcnt lgkmcnt(4)
	ds_write2_b32 v6, v3, v4 offset0:114 offset1:115
	;; [unrolled: 2-line block ×3, first 2 shown]
	s_waitcnt lgkmcnt(3)
	ds_write_b32 v6, v11 offset:472
.LBB17_16:
	s_or_b32 exec_lo, exec_lo, s0
	s_mov_b32 s8, exec_lo
	s_waitcnt lgkmcnt(0)
	s_barrier
	buffer_gl0_inv
	v_cmpx_gt_u32_e32 32, v0
	s_cbranch_execz .LBB17_18
; %bb.17:
	v_and_b32_e32 v8, 7, v5
	v_lshlrev_b32_e32 v17, 2, v5
	v_mul_u32_u24_e32 v9, 28, v8
	v_cmp_ne_u32_e32 vcc_lo, 7, v8
	v_or_b32_e32 v17, 16, v17
	ds_read2_b32 v[1:2], v9 offset0:112 offset1:113
	ds_read2_b32 v[3:4], v9 offset0:114 offset1:115
	;; [unrolled: 1-line block ×3, first 2 shown]
	v_add_co_ci_u32_e64 v10, null, 0, v5, vcc_lo
	ds_read_b32 v9, v9 offset:472
	v_cmp_gt_u32_e32 vcc_lo, 6, v8
	v_lshlrev_b32_e32 v10, 2, v10
	v_cndmask_b32_e64 v8, 0, 2, vcc_lo
	v_add_lshl_u32 v5, v8, v5, 2
	s_waitcnt lgkmcnt(3)
	ds_bpermute_b32 v13, v10, v2
	s_waitcnt lgkmcnt(3)
	ds_bpermute_b32 v12, v10, v4
	ds_bpermute_b32 v14, v10, v3
	;; [unrolled: 1-line block ×3, first 2 shown]
	s_waitcnt lgkmcnt(5)
	ds_bpermute_b32 v15, v10, v6
	ds_bpermute_b32 v16, v10, v7
	s_waitcnt lgkmcnt(6)
	ds_bpermute_b32 v8, v10, v9
	v_mul_f32_e32 v10, v1, v1
	s_waitcnt lgkmcnt(6)
	v_cmp_gt_f32_e32 vcc_lo, v2, v13
	s_waitcnt lgkmcnt(5)
	v_sub_f32_e32 v12, v12, v4
	s_waitcnt lgkmcnt(3)
	v_add_f32_e32 v18, v1, v11
	v_mul_f32_e32 v20, v6, v11
	v_cndmask_b32_e32 v2, v2, v13, vcc_lo
	v_cmp_lt_f32_e32 vcc_lo, v3, v14
	v_fma_f32 v21, -v1, v11, v10
	v_mul_f32_e32 v22, v11, v11
	s_waitcnt lgkmcnt(2)
	v_mul_f32_e32 v10, v10, v15
	v_mul_f32_e32 v24, v12, v12
	v_cndmask_b32_e32 v3, v3, v14, vcc_lo
	s_waitcnt lgkmcnt(1)
	v_add_f32_e32 v14, v7, v16
	v_mul_f32_e32 v7, v7, v11
	v_mul_f32_e32 v25, v12, v11
	v_add_f32_e32 v13, v6, v15
	v_fma_f32 v15, v1, v15, -v20
	v_fmac_f32_e32 v10, v6, v22
	v_mul_f32_e32 v6, 4.0, v12
	v_fma_f32 v7, v1, v16, -v7
	v_mul_f32_e32 v20, v12, v24
	v_div_scale_f32 v22, null, v18, v18, v25
	v_mul_f32_e32 v26, 0x40400000, v12
	v_mul_f32_e32 v28, v1, v24
	;; [unrolled: 1-line block ×4, first 2 shown]
	v_rcp_f32_e32 v12, v22
	v_mul_f32_e32 v15, v26, v15
	v_mul_f32_e32 v26, v28, v11
	;; [unrolled: 1-line block ×3, first 2 shown]
	v_sub_f32_e32 v19, v1, v11
	v_mul_f32_e32 v1, v1, v7
	v_mul_f32_e32 v23, v18, v18
	v_div_scale_f32 v30, null, v18, v18, v26
	v_mul_f32_e32 v20, v20, v11
	v_fma_f32 v33, -v22, v12, 1.0
	v_fmac_f32_e32 v21, v11, v11
	v_div_scale_f32 v27, vcc_lo, v25, v18, v25
	v_rcp_f32_e32 v7, v30
	v_mul_f32_e32 v19, v19, v20
	v_mul_f32_e32 v1, v1, v11
	v_fmac_f32_e32 v12, v33, v12
	v_div_scale_f32 v28, null, v18, v18, v15
	v_div_scale_f32 v34, null, v23, v23, v19
	v_mul_f32_e32 v1, v21, v1
	v_mul_f32_e32 v21, v27, v12
	v_fma_f32 v33, -v30, v7, 1.0
	v_rcp_f32_e32 v35, v34
	v_div_scale_f32 v31, s1, v26, v18, v26
	v_fma_f32 v38, -v22, v21, v27
	v_rcp_f32_e32 v32, v28
	v_fmac_f32_e32 v7, v33, v7
	v_mul_f32_e32 v16, v18, v23
	v_div_scale_f32 v36, s2, v19, v23, v19
	v_fmac_f32_e32 v21, v38, v12
	v_mul_f32_e32 v39, v31, v7
	v_fma_f32 v40, -v34, v35, 1.0
	v_mul_f32_e32 v24, 0x40c00000, v24
	v_div_scale_f32 v29, s0, v15, v18, v15
	v_fma_f32 v22, -v22, v21, v27
	v_fma_f32 v33, -v28, v32, 1.0
	v_fma_f32 v38, -v30, v39, v31
	v_fmac_f32_e32 v35, v40, v35
	v_div_scale_f32 v37, null, v16, v16, v1
	v_div_fmas_f32 v12, v22, v12, v21
	v_fmac_f32_e32 v32, v33, v32
	v_fmac_f32_e32 v39, v38, v7
	v_mul_f32_e32 v27, v36, v35
	v_mul_f32_e32 v10, v24, v10
	v_div_fixup_f32 v12, v12, v18, v25
	v_rcp_f32_e32 v33, v37
	v_mul_f32_e32 v21, v29, v32
	v_fma_f32 v30, -v30, v39, v31
	v_fma_f32 v31, -v34, v27, v36
	v_add_f32_e32 v4, v4, v12
	s_mov_b32 vcc_lo, s1
	v_div_scale_f32 v20, null, v23, v23, v10
	v_div_fmas_f32 v7, v30, v7, v39
	v_fmac_f32_e32 v27, v31, v35
	v_fma_f32 v25, -v28, v21, v29
	ds_bpermute_b32 v30, v5, v4
	v_div_scale_f32 v24, null, v18, v18, v6
	v_rcp_f32_e32 v11, v20
	v_fma_f32 v22, -v37, v33, 1.0
	v_fma_f32 v12, -v34, v27, v36
	v_fmac_f32_e32 v21, v25, v32
	ds_bpermute_b32 v25, v5, v18
	s_mov_b32 vcc_lo, s2
	v_div_scale_f32 v40, s3, v1, v16, v1
	v_fmac_f32_e32 v33, v22, v33
	v_div_fixup_f32 v7, v7, v18, v26
	v_rcp_f32_e32 v26, v24
	v_div_fmas_f32 v12, v12, v35, v27
	v_fma_f32 v22, -v20, v11, 1.0
	v_mul_f32_e32 v27, v40, v33
	s_mov_b32 vcc_lo, s0
	s_waitcnt lgkmcnt(2)
	v_add_f32_e32 v8, v9, v8
	v_div_fixup_f32 v12, v12, v23, v19
	v_fma_f32 v19, -v28, v21, v29
	v_fmac_f32_e32 v11, v22, v11
	v_div_scale_f32 v22, s1, v10, v23, v10
	v_fma_f32 v31, -v24, v26, 1.0
	v_fma_f32 v28, -v37, v27, v40
	v_div_fmas_f32 v19, v19, v32, v21
	s_waitcnt lgkmcnt(1)
	v_sub_f32_e32 v21, v30, v4
	v_mul_f32_e32 v29, v22, v11
	v_fmac_f32_e32 v26, v31, v26
	v_div_scale_f32 v31, s2, v6, v18, v6
	v_fmac_f32_e32 v27, v28, v33
	s_waitcnt lgkmcnt(0)
	v_add_f32_e32 v32, v18, v25
	v_mul_f32_e32 v34, v21, v25
	v_fma_f32 v28, -v20, v29, v22
	v_mul_f32_e32 v30, v31, v26
	v_fma_f32 v35, -v37, v27, v40
	s_mov_b32 vcc_lo, s3
	v_div_scale_f32 v36, null, v32, v32, v34
	v_fmac_f32_e32 v29, v28, v11
	v_fma_f32 v28, -v24, v30, v31
	v_div_fmas_f32 v27, v35, v33, v27
	v_rcp_f32_e32 v9, v36
	s_mov_b32 vcc_lo, s1
	v_fma_f32 v20, -v20, v29, v22
	v_fmac_f32_e32 v30, v28, v26
	v_div_fixup_f32 v1, v27, v16, v1
	v_add_f32_e32 v12, v14, v12
	v_div_fixup_f32 v14, v19, v18, v15
	v_div_fmas_f32 v11, v20, v11, v29
	v_fma_f32 v16, -v24, v30, v31
	v_add_f32_e32 v1, v8, v1
	v_fma_f32 v20, -v36, v9, 1.0
	v_mul_f32_e32 v8, v21, v21
	s_mov_b32 vcc_lo, s2
	v_div_fixup_f32 v10, v11, v23, v10
	v_div_fmas_f32 v16, v16, v26, v30
	v_fmac_f32_e32 v9, v20, v9
	v_div_scale_f32 v11, vcc_lo, v34, v32, v34
	v_mul_f32_e32 v15, v18, v8
	v_add_f32_e32 v1, v10, v1
	v_div_fixup_f32 v6, v16, v18, v6
	v_mul_f32_e32 v10, v11, v9
	v_add_f32_e32 v7, v13, v7
	v_mul_f32_e32 v13, v15, v25
	v_add_f32_e32 v12, v14, v12
	v_add_f32_e32 v1, v6, v1
	v_fma_f32 v6, -v36, v10, v11
	ds_bpermute_b32 v19, v5, v7
	v_div_scale_f32 v14, null, v32, v32, v13
	v_mul_f32_e32 v20, v21, v8
	v_fmac_f32_e32 v10, v6, v9
	ds_bpermute_b32 v15, v5, v2
	v_rcp_f32_e32 v6, v14
	v_mul_f32_e32 v29, 0x40400000, v21
	v_mul_f32_e32 v26, v18, v20
	v_fma_f32 v11, -v36, v10, v11
	v_mul_f32_e32 v20, v21, v20
	v_mul_f32_e32 v24, v32, v32
	ds_bpermute_b32 v22, v5, v12
	v_mul_f32_e32 v8, 0x40c00000, v8
	v_div_fmas_f32 v9, v11, v9, v10
	v_mul_f32_e32 v11, v26, v25
	v_fma_f32 v10, -v14, v6, 1.0
	v_sub_f32_e32 v26, v18, v25
	v_mul_f32_e32 v20, v18, v20
	v_div_fixup_f32 v9, v9, v32, v34
	v_mul_f32_e32 v27, v32, v24
	v_fmac_f32_e32 v6, v10, v6
	v_mul_f32_e32 v10, v26, v11
	v_mul_f32_e32 v11, v7, v25
	v_div_scale_f32 v26, vcc_lo, v13, v32, v13
	v_add_f32_e32 v4, v4, v9
	v_div_scale_f32 v28, null, v24, v24, v10
	s_waitcnt lgkmcnt(2)
	v_fma_f32 v11, v18, v19, -v11
	v_mul_f32_e32 v9, v26, v6
	s_waitcnt lgkmcnt(1)
	v_cmp_gt_f32_e64 s0, v2, v15
	v_mul_f32_e32 v20, v20, v25
	v_add_f32_e32 v33, v7, v19
	v_mul_f32_e32 v11, v29, v11
	v_fma_f32 v29, -v18, v25, v23
	v_fma_f32 v30, -v14, v9, v26
	v_cndmask_b32_e64 v2, v2, v15, s0
	v_rcp_f32_e32 v15, v28
	v_mul_f32_e32 v19, v23, v19
	v_fmac_f32_e32 v29, v25, v25
	v_fmac_f32_e32 v9, v30, v6
	v_div_scale_f32 v31, null, v32, v32, v11
	v_div_scale_f32 v23, s0, v10, v24, v10
	v_mul_f32_e32 v20, v29, v20
	v_fma_f32 v14, -v14, v9, v26
	v_mul_f32_e32 v26, v25, v25
	v_fma_f32 v30, -v28, v15, 1.0
	v_rcp_f32_e32 v34, v31
	v_div_scale_f32 v29, null, v27, v27, v20
	v_fmac_f32_e32 v19, v26, v7
	v_fmac_f32_e32 v15, v30, v15
	v_div_fmas_f32 v6, v14, v6, v9
	v_rcp_f32_e32 v35, v29
	v_mul_f32_e32 v25, v12, v25
	v_mul_f32_e32 v8, v8, v19
	;; [unrolled: 1-line block ×3, first 2 shown]
	v_fma_f32 v30, -v31, v34, 1.0
	v_mul_f32_e32 v21, 4.0, v21
	s_waitcnt lgkmcnt(0)
	v_fma_f32 v18, v18, v22, -v25
	v_div_scale_f32 v19, null, v24, v24, v8
	v_fma_f32 v26, -v28, v7, v23
	v_fma_f32 v14, -v29, v35, 1.0
	v_fmac_f32_e32 v34, v30, v34
	v_div_scale_f32 v9, s1, v11, v32, v11
	v_fmac_f32_e32 v7, v26, v15
	v_fmac_f32_e32 v35, v14, v35
	v_rcp_f32_e32 v14, v19
	v_mul_f32_e32 v18, v21, v18
	v_mul_f32_e32 v30, v9, v34
	v_div_scale_f32 v25, s2, v20, v27, v20
	v_fma_f32 v23, -v28, v7, v23
	v_div_scale_f32 v36, null, v32, v32, v18
	s_mov_b32 vcc_lo, s0
	v_add_f32_e32 v12, v12, v22
	v_fma_f32 v26, -v19, v14, 1.0
	v_fma_f32 v21, -v31, v30, v9
	v_mul_f32_e32 v22, v25, v35
	v_div_fmas_f32 v7, v23, v15, v7
	ds_bpermute_b32 v15, v17, v4
	v_fmac_f32_e32 v14, v26, v14
	v_rcp_f32_e32 v26, v36
	ds_bpermute_b32 v16, v5, v3
	ds_bpermute_b32 v5, v5, v1
	v_fmac_f32_e32 v30, v21, v34
	v_fma_f32 v21, -v29, v22, v25
	v_div_scale_f32 v28, s3, v8, v24, v8
	ds_bpermute_b32 v23, v17, v32
	v_fma_f32 v9, -v31, v30, v9
	v_fmac_f32_e32 v22, v21, v35
	v_mul_f32_e32 v21, v28, v14
	v_fma_f32 v31, -v36, v26, 1.0
	s_mov_b32 vcc_lo, s1
	v_div_fixup_f32 v7, v7, v24, v10
	v_div_fmas_f32 v9, v9, v34, v30
	v_fma_f32 v25, -v29, v22, v25
	v_fma_f32 v29, -v19, v21, v28
	v_fmac_f32_e32 v26, v31, v26
	v_div_scale_f32 v30, s0, v18, v32, v18
	s_mov_b32 vcc_lo, s2
	v_fmac_f32_e32 v21, v29, v14
	v_div_fmas_f32 v22, v25, v35, v22
	v_mul_f32_e32 v25, v30, v26
	s_waitcnt lgkmcnt(3)
	v_sub_f32_e32 v15, v15, v4
	s_waitcnt lgkmcnt(1)
	v_add_f32_e32 v5, v1, v5
	v_fma_f32 v19, -v19, v21, v28
	v_div_fixup_f32 v20, v22, v27, v20
	v_fma_f32 v22, -v36, v25, v30
	s_waitcnt lgkmcnt(0)
	v_add_f32_e32 v1, v32, v23
	v_mul_f32_e32 v27, v15, v23
	s_mov_b32 vcc_lo, s3
	v_add_f32_e32 v5, v5, v20
	v_div_fmas_f32 v14, v19, v14, v21
	v_fmac_f32_e32 v25, v22, v26
	v_div_scale_f32 v19, null, v1, v1, v27
	s_mov_b32 vcc_lo, s0
	v_div_fixup_f32 v8, v14, v24, v8
	v_fma_f32 v10, -v36, v25, v30
	v_rcp_f32_e32 v14, v19
	v_add_f32_e32 v7, v12, v7
	v_div_fixup_f32 v9, v9, v32, v11
	v_add_f32_e32 v5, v8, v5
	v_div_fmas_f32 v10, v10, v26, v25
	v_cmp_lt_f32_e32 vcc_lo, v3, v16
	v_div_fixup_f32 v6, v6, v32, v13
	v_add_f32_e32 v7, v9, v7
	v_sub_f32_e32 v29, v32, v23
	v_div_fixup_f32 v8, v10, v32, v18
	v_fma_f32 v10, -v19, v14, 1.0
	v_cndmask_b32_e32 v3, v3, v16, vcc_lo
	v_div_scale_f32 v9, vcc_lo, v27, v1, v27
	v_add_f32_e32 v6, v33, v6
	v_fmac_f32_e32 v14, v10, v14
	ds_bpermute_b32 v10, v17, v2
	v_add_f32_e32 v5, v8, v5
	v_mul_f32_e32 v8, v15, v15
	ds_bpermute_b32 v13, v17, v6
	v_mul_f32_e32 v16, v9, v14
	v_mul_f32_e32 v21, v1, v1
	ds_bpermute_b32 v18, v17, v7
	v_mul_f32_e32 v11, v32, v8
	v_mul_f32_e32 v20, v15, v8
	v_fma_f32 v22, -v19, v16, v9
	v_mul_f32_e32 v28, v1, v21
	v_mul_f32_e32 v8, 0x40c00000, v8
	v_mul_f32_e32 v11, v11, v23
	v_mul_f32_e32 v26, v32, v20
	v_fmac_f32_e32 v16, v22, v14
	v_mul_f32_e32 v20, v15, v20
	ds_bpermute_b32 v12, v17, v3
	v_div_scale_f32 v25, null, v1, v1, v11
	v_fma_f32 v9, -v19, v16, v9
	v_mul_f32_e32 v26, v26, v23
	s_waitcnt lgkmcnt(3)
	v_cmp_gt_f32_e64 s0, v2, v10
	v_rcp_f32_e32 v22, v25
	v_mul_f32_e32 v20, v32, v20
	v_div_fmas_f32 v9, v9, v14, v16
	v_mul_f32_e32 v14, v6, v23
	v_cndmask_b32_e64 v2, v2, v10, s0
	v_mul_f32_e32 v10, v29, v26
	v_mul_f32_e32 v26, 0x40400000, v15
	v_mul_f32_e32 v20, v20, v23
	s_waitcnt lgkmcnt(2)
	v_fma_f32 v14, v32, v13, -v14
	v_div_fixup_f32 v9, v9, v1, v27
	v_div_scale_f32 v19, null, v21, v21, v10
	v_fma_f32 v16, -v25, v22, 1.0
	v_mul_f32_e32 v14, v26, v14
	v_fma_f32 v26, -v32, v23, v24
	v_rcp_f32_e32 v29, v19
	v_mul_f32_e32 v24, v24, v13
	v_fmac_f32_e32 v22, v16, v22
	v_div_scale_f32 v16, vcc_lo, v11, v1, v11
	v_fmac_f32_e32 v26, v23, v23
	v_div_scale_f32 v31, null, v1, v1, v14
	v_mul_f32_e32 v30, v16, v22
	v_mul_f32_e32 v15, 4.0, v15
	v_mul_f32_e32 v20, v26, v20
	v_mul_f32_e32 v26, v23, v23
	v_fma_f32 v33, -v19, v29, 1.0
	v_fma_f32 v27, -v25, v30, v16
	v_mul_f32_e32 v23, v7, v23
	v_rcp_f32_e32 v34, v31
	v_fmac_f32_e32 v24, v26, v6
	v_fmac_f32_e32 v29, v33, v29
	v_div_scale_f32 v33, null, v28, v28, v20
	v_fmac_f32_e32 v30, v27, v22
	v_mul_f32_e32 v8, v8, v24
	s_waitcnt lgkmcnt(1)
	v_fma_f32 v23, v32, v18, -v23
	v_rcp_f32_e32 v36, v33
	v_div_scale_f32 v26, s0, v10, v21, v10
	v_div_scale_f32 v27, null, v21, v21, v8
	v_mul_f32_e32 v15, v15, v23
	v_fma_f32 v35, -v31, v34, 1.0
	v_mul_f32_e32 v24, v26, v29
	v_rcp_f32_e32 v38, v27
	v_fma_f32 v16, -v25, v30, v16
	v_fma_f32 v37, -v33, v36, 1.0
	v_div_scale_f32 v39, null, v1, v1, v15
	v_fmac_f32_e32 v34, v35, v34
	v_div_scale_f32 v35, s1, v14, v1, v14
	v_fmac_f32_e32 v36, v37, v36
	v_fma_f32 v25, -v19, v24, v26
	v_fma_f32 v37, -v27, v38, 1.0
	v_div_scale_f32 v23, s2, v20, v28, v20
	v_mul_f32_e32 v32, v35, v34
	v_fmac_f32_e32 v24, v25, v29
	v_fmac_f32_e32 v38, v37, v38
	v_rcp_f32_e32 v37, v39
	v_mul_f32_e32 v40, v23, v36
	v_fma_f32 v25, -v31, v32, v35
	v_div_scale_f32 v41, s3, v8, v21, v8
	v_div_fmas_f32 v16, v16, v22, v30
	v_fma_f32 v19, -v19, v24, v26
	v_fma_f32 v22, -v33, v40, v23
	v_fmac_f32_e32 v32, v25, v34
	ds_bpermute_b32 v17, v17, v5
	v_fma_f32 v26, -v39, v37, 1.0
	v_mul_f32_e32 v25, v41, v38
	s_mov_b32 vcc_lo, s0
	v_fmac_f32_e32 v40, v22, v36
	v_div_fmas_f32 v19, v19, v29, v24
	v_fmac_f32_e32 v37, v26, v37
	v_div_scale_f32 v26, s0, v15, v1, v15
	v_fma_f32 v24, -v31, v32, v35
	v_fma_f32 v22, -v27, v25, v41
	v_fma_f32 v23, -v33, v40, v23
	v_mul_f32_e32 v29, v26, v37
	s_mov_b32 vcc_lo, s1
	v_add_f32_e32 v6, v6, v13
	v_div_fmas_f32 v24, v24, v34, v32
	s_mov_b32 vcc_lo, s2
	v_fmac_f32_e32 v25, v22, v38
	v_div_fmas_f32 v22, v23, v36, v40
	v_fma_f32 v23, -v39, v29, v26
	s_mov_b32 vcc_lo, s3
	s_waitcnt lgkmcnt(0)
	v_add_f32_e32 v5, v5, v17
	v_fma_f32 v13, -v27, v25, v41
	v_div_fixup_f32 v17, v22, v28, v20
	v_fmac_f32_e32 v29, v23, v37
	v_add_f32_e32 v7, v7, v18
	v_div_fixup_f32 v10, v19, v21, v10
	v_div_fmas_f32 v13, v13, v38, v25
	s_mov_b32 vcc_lo, s0
	v_fma_f32 v18, -v39, v29, v26
	v_add_f32_e32 v5, v5, v17
	v_div_fixup_f32 v11, v16, v1, v11
	v_div_fixup_f32 v8, v13, v21, v8
	v_add_f32_e32 v7, v7, v10
	v_div_fmas_f32 v13, v18, v37, v29
	v_div_fixup_f32 v10, v24, v1, v14
	v_cmp_lt_f32_e32 vcc_lo, v3, v12
	v_add_f32_e32 v5, v8, v5
	v_add_f32_e32 v4, v4, v9
	v_div_fixup_f32 v8, v13, v1, v15
	v_add_f32_e32 v9, v6, v11
	v_cndmask_b32_e32 v3, v3, v12, vcc_lo
	v_add_f32_e32 v10, v10, v7
	v_add_f32_e32 v11, v8, v5
.LBB17_18:
	s_or_b32 exec_lo, exec_lo, s8
	s_branch .LBB17_85
.LBB17_19:
                                        ; implicit-def: $vgpr14
                                        ; implicit-def: $vgpr8
	s_branch .LBB17_98
.LBB17_20:
                                        ; implicit-def: $vgpr19
                                        ; implicit-def: $vgpr1
	s_cbranch_execz .LBB17_53
; %bb.21:
	s_sub_i32 s19, s22, s19
	s_mov_b32 s0, exec_lo
                                        ; implicit-def: $vgpr19
                                        ; implicit-def: $vgpr4
	v_cmpx_gt_u32_e64 s19, v0
	s_cbranch_execz .LBB17_23
; %bb.22:
	v_mad_u64_u32 v[5:6], null, v0, 28, s[24:25]
	s_clause 0x1
	global_load_dwordx4 v[1:4], v[5:6], off
	global_load_dwordx3 v[17:19], v[5:6], off offset:16
.LBB17_23:
	s_or_b32 exec_lo, exec_lo, s0
	v_or_b32_e32 v5, 0x100, v0
                                        ; implicit-def: $vgpr28
                                        ; implicit-def: $vgpr16
	v_cmp_gt_u32_e32 vcc_lo, s19, v5
	s_and_saveexec_b32 s0, vcc_lo
	s_cbranch_execz .LBB17_25
; %bb.24:
	v_mad_u64_u32 v[5:6], null, v5, 28, s[24:25]
	s_clause 0x1
	global_load_dwordx4 v[13:16], v[5:6], off
	global_load_dwordx3 v[26:28], v[5:6], off offset:16
.LBB17_25:
	s_or_b32 exec_lo, exec_lo, s0
	v_or_b32_e32 v5, 0x200, v0
                                        ; implicit-def: $vgpr25
                                        ; implicit-def: $vgpr12
	v_cmp_gt_u32_e64 s1, s19, v5
	s_and_saveexec_b32 s0, s1
	s_cbranch_execz .LBB17_27
; %bb.26:
	v_mad_u64_u32 v[5:6], null, v5, 28, s[24:25]
	s_clause 0x1
	global_load_dwordx4 v[9:12], v[5:6], off
	global_load_dwordx3 v[23:25], v[5:6], off offset:16
.LBB17_27:
	s_or_b32 exec_lo, exec_lo, s0
	v_or_b32_e32 v5, 0x300, v0
                                        ; implicit-def: $vgpr22
                                        ; implicit-def: $vgpr8
	v_cmp_gt_u32_e64 s0, s19, v5
	s_and_saveexec_b32 s2, s0
	s_cbranch_execnz .LBB17_130
; %bb.28:
	s_or_b32 exec_lo, exec_lo, s2
	s_and_saveexec_b32 s24, vcc_lo
	s_cbranch_execnz .LBB17_131
.LBB17_29:
	s_or_b32 exec_lo, exec_lo, s24
	s_and_saveexec_b32 s10, s1
	s_cbranch_execnz .LBB17_132
.LBB17_30:
	s_or_b32 exec_lo, exec_lo, s10
	s_and_saveexec_b32 s9, s0
	s_cbranch_execz .LBB17_32
.LBB17_31:
	s_waitcnt vmcnt(1)
	v_sub_f32_e32 v8, v8, v4
	v_cmp_lt_f32_e32 vcc_lo, v6, v2
	v_add_f32_e32 v9, v5, v1
	s_waitcnt vmcnt(0)
	v_mul_f32_e32 v14, v5, v17
	v_mul_f32_e32 v15, v1, v1
	;; [unrolled: 1-line block ×3, first 2 shown]
	v_cndmask_b32_e32 v2, v2, v6, vcc_lo
	v_mul_f32_e32 v6, v5, v8
	v_mul_f32_e32 v27, 0x40400000, v8
	v_fma_f32 v14, v20, v1, -v14
	v_mul_f32_e32 v23, v12, v1
	v_mul_f32_e32 v25, v8, v12
	v_div_scale_f32 v13, null, v9, v9, v6
	v_div_scale_f32 v32, vcc_lo, v6, v9, v6
	v_mul_f32_e32 v23, v5, v23
	v_rcp_f32_e32 v24, v13
	v_mul_f32_e32 v14, v27, v14
	v_mul_f32_e32 v28, v1, v25
	;; [unrolled: 1-line block ×3, first 2 shown]
	v_div_scale_f32 v30, null, v9, v9, v23
	v_sub_f32_e32 v11, v1, v5
	v_fma_f32 v29, -v5, v1, v15
	v_mul_f32_e32 v28, v5, v28
	v_rcp_f32_e32 v33, v30
	v_fma_f32 v31, -v13, v24, 1.0
	v_mul_f32_e32 v25, v1, v25
	v_mul_f32_e32 v16, v5, v5
	;; [unrolled: 1-line block ×4, first 2 shown]
	v_fmac_f32_e32 v24, v31, v24
	v_mul_f32_e32 v11, v11, v28
	v_fmac_f32_e32 v29, v5, v5
	v_mul_f32_e32 v25, v5, v25
	v_fma_f32 v31, -v30, v33, 1.0
	v_mul_f32_e32 v27, v32, v24
	v_add_f32_e32 v10, v20, v17
	v_mul_f32_e32 v20, v9, v26
	v_div_scale_f32 v28, null, v26, v26, v11
	v_fma_f32 v34, -v13, v27, v32
	v_fmac_f32_e32 v33, v31, v33
	v_div_scale_f32 v31, null, v9, v9, v14
	v_mul_f32_e32 v25, v29, v25
	v_fmac_f32_e32 v27, v34, v24
	v_mul_f32_e32 v12, 0x40c00000, v12
	v_fmac_f32_e32 v15, v16, v17
	v_rcp_f32_e32 v35, v28
	v_div_scale_f32 v36, s0, v23, v9, v23
	v_fma_f32 v13, -v13, v27, v32
	v_mul_f32_e32 v12, v12, v15
	v_mul_f32_e32 v5, v5, v18
	;; [unrolled: 1-line block ×3, first 2 shown]
	v_mul_f32_e32 v8, 4.0, v8
	v_div_fmas_f32 v13, v13, v24, v27
	v_rcp_f32_e32 v24, v31
	v_fma_f32 v34, -v28, v35, 1.0
	v_fma_f32 v1, v21, v1, -v5
	v_fma_f32 v27, -v30, v32, v36
	v_div_fixup_f32 v6, v13, v9, v6
	v_div_scale_f32 v13, null, v20, v20, v25
	v_fmac_f32_e32 v35, v34, v35
	v_div_scale_f32 v16, s1, v11, v26, v11
	v_fma_f32 v17, -v31, v24, 1.0
	v_rcp_f32_e32 v29, v13
	v_mul_f32_e32 v1, v8, v1
	v_fmac_f32_e32 v32, v27, v33
	v_mul_f32_e32 v15, v16, v35
	v_fmac_f32_e32 v24, v17, v24
	v_div_scale_f32 v17, null, v26, v26, v12
	v_div_scale_f32 v38, null, v9, v9, v1
	v_div_scale_f32 v27, s2, v14, v9, v14
	v_rcp_f32_e32 v37, v17
	v_fma_f32 v34, -v13, v29, 1.0
	v_fma_f32 v5, -v30, v32, v36
	v_fma_f32 v30, -v28, v15, v16
	v_div_scale_f32 v8, s3, v25, v20, v25
	v_fmac_f32_e32 v29, v34, v29
	v_mul_f32_e32 v36, v27, v24
	v_fmac_f32_e32 v15, v30, v35
	s_mov_b32 vcc_lo, s0
	v_fma_f32 v34, -v17, v37, 1.0
	v_mul_f32_e32 v39, v8, v29
	v_fma_f32 v30, -v31, v36, v27
	v_div_scale_f32 v40, s8, v12, v26, v12
	v_fmac_f32_e32 v37, v34, v37
	v_rcp_f32_e32 v34, v38
	v_div_fmas_f32 v5, v5, v33, v32
	v_fma_f32 v16, -v28, v15, v16
	v_fma_f32 v28, -v13, v39, v8
	v_fmac_f32_e32 v36, v30, v24
	v_mul_f32_e32 v30, v40, v37
	s_mov_b32 vcc_lo, s1
	v_add_f32_e32 v19, v22, v19
	v_fmac_f32_e32 v39, v28, v29
	v_div_scale_f32 v28, s0, v1, v9, v1
	v_fma_f32 v32, -v38, v34, 1.0
	v_div_fmas_f32 v15, v16, v35, v15
	v_fma_f32 v16, -v31, v36, v27
	v_fma_f32 v27, -v17, v30, v40
	;; [unrolled: 1-line block ×3, first 2 shown]
	v_fmac_f32_e32 v34, v32, v34
	s_mov_b32 vcc_lo, s2
	v_div_fixup_f32 v11, v15, v26, v11
	v_div_fmas_f32 v16, v16, v24, v36
	v_fmac_f32_e32 v30, v27, v37
	v_mul_f32_e32 v13, v28, v34
	s_mov_b32 vcc_lo, s3
	v_div_fixup_f32 v5, v5, v9, v23
	v_div_fmas_f32 v8, v8, v29, v39
	v_fma_f32 v17, -v17, v30, v40
	v_fma_f32 v24, -v38, v13, v28
	s_mov_b32 vcc_lo, s8
	v_add_f32_e32 v18, v21, v18
	v_div_fixup_f32 v8, v8, v20, v25
	v_div_fmas_f32 v17, v17, v37, v30
	v_fmac_f32_e32 v13, v24, v34
	s_mov_b32 vcc_lo, s0
	v_add_f32_e32 v4, v4, v6
	v_add_f32_e32 v8, v19, v8
	v_div_fixup_f32 v12, v17, v26, v12
	v_fma_f32 v15, -v38, v13, v28
	v_add_f32_e32 v17, v10, v5
	v_add_f32_e32 v10, v18, v11
	v_div_fixup_f32 v11, v16, v9, v14
	v_add_f32_e32 v8, v12, v8
	v_div_fmas_f32 v13, v15, v34, v13
	v_cmp_lt_f32_e32 vcc_lo, v3, v7
	v_add_f32_e32 v18, v11, v10
	v_div_fixup_f32 v1, v13, v9, v1
	v_cndmask_b32_e32 v3, v3, v7, vcc_lo
	v_add_f32_e32 v19, v1, v8
	v_mov_b32_e32 v1, v9
.LBB17_32:
	s_or_b32 exec_lo, exec_lo, s9
	s_waitcnt vmcnt(1)
	v_mbcnt_lo_u32_b32 v5, -1, 0
	s_min_u32 s9, s19, 0x100
	s_mov_b32 s0, exec_lo
	v_cmp_ne_u32_e32 vcc_lo, 31, v5
	v_add_nc_u32_e32 v14, 1, v5
	v_add_co_ci_u32_e64 v6, null, 0, v5, vcc_lo
	v_lshlrev_b32_e32 v6, 2, v6
	ds_bpermute_b32 v10, v6, v1
	ds_bpermute_b32 v12, v6, v2
	;; [unrolled: 1-line block ×4, first 2 shown]
	s_waitcnt vmcnt(0)
	ds_bpermute_b32 v11, v6, v17
	ds_bpermute_b32 v8, v6, v18
	;; [unrolled: 1-line block ×3, first 2 shown]
	v_and_b32_e32 v6, 0xe0, v0
	v_sub_nc_u32_e64 v6, s9, v6 clamp
	v_cmpx_lt_u32_e64 v14, v6
	s_xor_b32 s10, exec_lo, s0
	s_cbranch_execz .LBB17_34
; %bb.33:
	s_waitcnt lgkmcnt(3)
	v_sub_f32_e32 v13, v13, v4
	v_cmp_gt_f32_e32 vcc_lo, v2, v12
	v_add_f32_e32 v14, v1, v10
	v_mul_f32_e32 v22, v17, v10
	v_mul_f32_e32 v23, v1, v1
	;; [unrolled: 1-line block ×3, first 2 shown]
	v_cndmask_b32_e32 v2, v2, v12, vcc_lo
	v_mul_f32_e32 v12, v13, v10
	v_mul_f32_e32 v29, 0x40400000, v13
	s_waitcnt lgkmcnt(2)
	v_fma_f32 v22, v1, v11, -v22
	v_mul_f32_e32 v25, v1, v20
	v_mul_f32_e32 v27, v13, v20
	v_div_scale_f32 v21, null, v14, v14, v12
	v_div_scale_f32 v34, vcc_lo, v12, v14, v12
	v_mul_f32_e32 v25, v25, v10
	v_rcp_f32_e32 v26, v21
	v_mul_f32_e32 v22, v29, v22
	v_mul_f32_e32 v30, v1, v27
	;; [unrolled: 1-line block ×3, first 2 shown]
	v_div_scale_f32 v32, null, v14, v14, v25
	v_sub_f32_e32 v16, v1, v10
	v_fma_f32 v31, -v1, v10, v23
	v_mul_f32_e32 v30, v30, v10
	v_rcp_f32_e32 v35, v32
	v_fma_f32 v33, -v21, v26, 1.0
	v_mul_f32_e32 v27, v1, v27
	v_add_f32_e32 v15, v17, v11
	v_mul_f32_e32 v24, v10, v10
	v_mul_f32_e32 v28, v14, v14
	v_fmac_f32_e32 v26, v33, v26
	v_mul_f32_e32 v11, v23, v11
	v_mul_f32_e32 v16, v16, v30
	v_fmac_f32_e32 v31, v10, v10
	v_fma_f32 v33, -v32, v35, 1.0
	v_mul_f32_e32 v29, v34, v26
	v_mul_f32_e32 v27, v27, v10
	;; [unrolled: 1-line block ×3, first 2 shown]
	v_div_scale_f32 v30, null, v28, v28, v16
	v_fma_f32 v36, -v21, v29, v34
	v_fmac_f32_e32 v35, v33, v35
	v_div_scale_f32 v33, null, v14, v14, v22
	v_mul_f32_e32 v27, v31, v27
	v_fmac_f32_e32 v29, v36, v26
	v_mul_f32_e32 v20, 0x40c00000, v20
	v_fmac_f32_e32 v11, v17, v24
	v_rcp_f32_e32 v37, v30
	v_div_scale_f32 v38, s0, v25, v14, v25
	v_fma_f32 v21, -v21, v29, v34
	v_mul_f32_e32 v11, v20, v11
	v_mul_f32_e32 v10, v18, v10
	;; [unrolled: 1-line block ×3, first 2 shown]
	v_mul_f32_e32 v13, 4.0, v13
	v_div_fmas_f32 v21, v21, v26, v29
	v_rcp_f32_e32 v26, v33
	v_fma_f32 v36, -v30, v37, 1.0
	s_waitcnt lgkmcnt(1)
	v_fma_f32 v1, v1, v8, -v10
	v_fma_f32 v29, -v32, v34, v38
	v_div_fixup_f32 v12, v21, v14, v12
	v_div_scale_f32 v21, null, v23, v23, v27
	v_fmac_f32_e32 v37, v36, v37
	v_div_scale_f32 v17, s1, v16, v28, v16
	v_fma_f32 v24, -v33, v26, 1.0
	v_rcp_f32_e32 v31, v21
	v_mul_f32_e32 v1, v13, v1
	v_fmac_f32_e32 v34, v29, v35
	v_mul_f32_e32 v20, v17, v37
	v_fmac_f32_e32 v26, v24, v26
	v_div_scale_f32 v24, null, v28, v28, v11
	v_div_scale_f32 v40, null, v14, v14, v1
	v_div_scale_f32 v29, s2, v22, v14, v22
	v_rcp_f32_e32 v39, v24
	v_fma_f32 v36, -v21, v31, 1.0
	v_fma_f32 v10, -v32, v34, v38
	v_fma_f32 v32, -v30, v20, v17
	v_div_scale_f32 v13, s3, v27, v23, v27
	v_fmac_f32_e32 v31, v36, v31
	v_mul_f32_e32 v38, v29, v26
	v_fmac_f32_e32 v20, v32, v37
	s_mov_b32 vcc_lo, s0
	v_fma_f32 v36, -v24, v39, 1.0
	v_mul_f32_e32 v41, v13, v31
	v_fma_f32 v32, -v33, v38, v29
	v_div_scale_f32 v42, s8, v11, v28, v11
	v_fmac_f32_e32 v39, v36, v39
	v_rcp_f32_e32 v36, v40
	v_div_fmas_f32 v10, v10, v35, v34
	v_fma_f32 v17, -v30, v20, v17
	v_fma_f32 v30, -v21, v41, v13
	v_fmac_f32_e32 v38, v32, v26
	v_mul_f32_e32 v32, v42, v39
	s_mov_b32 vcc_lo, s1
	s_waitcnt lgkmcnt(0)
	v_add_f32_e32 v9, v19, v9
	v_fmac_f32_e32 v41, v30, v31
	v_div_scale_f32 v30, s0, v1, v14, v1
	v_fma_f32 v34, -v40, v36, 1.0
	v_div_fmas_f32 v17, v17, v37, v20
	v_fma_f32 v20, -v33, v38, v29
	v_fma_f32 v29, -v24, v32, v42
	;; [unrolled: 1-line block ×3, first 2 shown]
	v_fmac_f32_e32 v36, v34, v36
	s_mov_b32 vcc_lo, s2
	v_div_fixup_f32 v16, v17, v28, v16
	v_div_fmas_f32 v20, v20, v26, v38
	v_fmac_f32_e32 v32, v29, v39
	v_mul_f32_e32 v21, v30, v36
	s_mov_b32 vcc_lo, s3
	v_div_fixup_f32 v10, v10, v14, v25
	v_div_fmas_f32 v13, v13, v31, v41
	v_fma_f32 v19, -v24, v32, v42
	v_fma_f32 v26, -v40, v21, v30
	s_mov_b32 vcc_lo, s8
	v_add_f32_e32 v8, v18, v8
	v_div_fixup_f32 v13, v13, v23, v27
	v_div_fmas_f32 v19, v19, v39, v32
	v_fmac_f32_e32 v21, v26, v36
	s_mov_b32 vcc_lo, s0
	v_add_f32_e32 v8, v8, v16
	v_add_f32_e32 v9, v9, v13
	v_div_fixup_f32 v11, v19, v28, v11
	v_fma_f32 v17, -v40, v21, v30
	v_add_f32_e32 v4, v4, v12
	v_add_f32_e32 v9, v11, v9
	v_div_fmas_f32 v13, v17, v36, v21
	v_add_f32_e32 v17, v15, v10
	v_div_fixup_f32 v15, v20, v14, v22
	v_cmp_lt_f32_e32 vcc_lo, v3, v7
	v_div_fixup_f32 v1, v13, v14, v1
	v_add_f32_e32 v18, v15, v8
	v_cndmask_b32_e32 v3, v3, v7, vcc_lo
	v_add_f32_e32 v19, v1, v9
	v_mov_b32_e32 v1, v14
.LBB17_34:
	s_or_b32 exec_lo, exec_lo, s10
	v_cmp_gt_u32_e32 vcc_lo, 30, v5
	v_add_nc_u32_e32 v14, 2, v5
	s_mov_b32 s10, exec_lo
	s_waitcnt lgkmcnt(4)
	v_cndmask_b32_e64 v7, 0, 2, vcc_lo
	s_waitcnt lgkmcnt(0)
	v_add_lshl_u32 v9, v7, v5, 2
	ds_bpermute_b32 v10, v9, v1
	ds_bpermute_b32 v12, v9, v2
	;; [unrolled: 1-line block ×7, first 2 shown]
	v_cmpx_lt_u32_e64 v14, v6
	s_cbranch_execz .LBB17_36
; %bb.35:
	s_waitcnt lgkmcnt(3)
	v_sub_f32_e32 v13, v13, v4
	v_cmp_gt_f32_e32 vcc_lo, v2, v12
	v_add_f32_e32 v14, v1, v10
	v_mul_f32_e32 v22, v17, v10
	v_mul_f32_e32 v23, v1, v1
	;; [unrolled: 1-line block ×3, first 2 shown]
	v_cndmask_b32_e32 v2, v2, v12, vcc_lo
	v_mul_f32_e32 v12, v13, v10
	v_mul_f32_e32 v29, 0x40400000, v13
	s_waitcnt lgkmcnt(2)
	v_fma_f32 v22, v1, v11, -v22
	v_mul_f32_e32 v25, v1, v20
	v_mul_f32_e32 v27, v13, v20
	v_div_scale_f32 v21, null, v14, v14, v12
	v_div_scale_f32 v34, vcc_lo, v12, v14, v12
	v_mul_f32_e32 v25, v25, v10
	v_rcp_f32_e32 v26, v21
	v_mul_f32_e32 v22, v29, v22
	v_mul_f32_e32 v30, v1, v27
	;; [unrolled: 1-line block ×3, first 2 shown]
	v_div_scale_f32 v32, null, v14, v14, v25
	v_sub_f32_e32 v16, v1, v10
	v_fma_f32 v31, -v1, v10, v23
	v_mul_f32_e32 v30, v30, v10
	v_rcp_f32_e32 v35, v32
	v_fma_f32 v33, -v21, v26, 1.0
	v_mul_f32_e32 v27, v1, v27
	v_add_f32_e32 v15, v17, v11
	v_mul_f32_e32 v24, v10, v10
	v_mul_f32_e32 v28, v14, v14
	v_fmac_f32_e32 v26, v33, v26
	v_mul_f32_e32 v11, v23, v11
	v_mul_f32_e32 v16, v16, v30
	v_fmac_f32_e32 v31, v10, v10
	v_fma_f32 v33, -v32, v35, 1.0
	v_mul_f32_e32 v29, v34, v26
	v_mul_f32_e32 v27, v27, v10
	;; [unrolled: 1-line block ×3, first 2 shown]
	v_div_scale_f32 v30, null, v28, v28, v16
	v_fma_f32 v36, -v21, v29, v34
	v_fmac_f32_e32 v35, v33, v35
	v_div_scale_f32 v33, null, v14, v14, v22
	v_mul_f32_e32 v27, v31, v27
	v_fmac_f32_e32 v29, v36, v26
	v_mul_f32_e32 v20, 0x40c00000, v20
	v_fmac_f32_e32 v11, v17, v24
	v_rcp_f32_e32 v37, v30
	v_div_scale_f32 v38, s0, v25, v14, v25
	v_fma_f32 v21, -v21, v29, v34
	v_mul_f32_e32 v11, v20, v11
	v_mul_f32_e32 v10, v18, v10
	;; [unrolled: 1-line block ×3, first 2 shown]
	v_mul_f32_e32 v13, 4.0, v13
	v_div_fmas_f32 v21, v21, v26, v29
	v_rcp_f32_e32 v26, v33
	v_fma_f32 v36, -v30, v37, 1.0
	s_waitcnt lgkmcnt(1)
	v_fma_f32 v1, v1, v8, -v10
	v_fma_f32 v29, -v32, v34, v38
	v_div_fixup_f32 v12, v21, v14, v12
	v_div_scale_f32 v21, null, v23, v23, v27
	v_fmac_f32_e32 v37, v36, v37
	v_div_scale_f32 v17, s1, v16, v28, v16
	v_fma_f32 v24, -v33, v26, 1.0
	v_rcp_f32_e32 v31, v21
	v_mul_f32_e32 v1, v13, v1
	v_fmac_f32_e32 v34, v29, v35
	v_mul_f32_e32 v20, v17, v37
	v_fmac_f32_e32 v26, v24, v26
	v_div_scale_f32 v24, null, v28, v28, v11
	v_div_scale_f32 v40, null, v14, v14, v1
	v_div_scale_f32 v29, s2, v22, v14, v22
	v_rcp_f32_e32 v39, v24
	v_fma_f32 v36, -v21, v31, 1.0
	v_fma_f32 v10, -v32, v34, v38
	v_fma_f32 v32, -v30, v20, v17
	v_div_scale_f32 v13, s3, v27, v23, v27
	v_fmac_f32_e32 v31, v36, v31
	v_mul_f32_e32 v38, v29, v26
	v_fmac_f32_e32 v20, v32, v37
	s_mov_b32 vcc_lo, s0
	v_fma_f32 v36, -v24, v39, 1.0
	v_mul_f32_e32 v41, v13, v31
	v_fma_f32 v32, -v33, v38, v29
	v_div_scale_f32 v42, s8, v11, v28, v11
	v_fmac_f32_e32 v39, v36, v39
	v_rcp_f32_e32 v36, v40
	v_div_fmas_f32 v10, v10, v35, v34
	v_fma_f32 v17, -v30, v20, v17
	v_fma_f32 v30, -v21, v41, v13
	v_fmac_f32_e32 v38, v32, v26
	v_mul_f32_e32 v32, v42, v39
	s_mov_b32 vcc_lo, s1
	s_waitcnt lgkmcnt(0)
	v_add_f32_e32 v9, v19, v9
	v_fmac_f32_e32 v41, v30, v31
	v_div_scale_f32 v30, s0, v1, v14, v1
	v_fma_f32 v34, -v40, v36, 1.0
	v_div_fmas_f32 v17, v17, v37, v20
	v_fma_f32 v20, -v33, v38, v29
	v_fma_f32 v29, -v24, v32, v42
	;; [unrolled: 1-line block ×3, first 2 shown]
	v_fmac_f32_e32 v36, v34, v36
	s_mov_b32 vcc_lo, s2
	v_div_fixup_f32 v16, v17, v28, v16
	v_div_fmas_f32 v20, v20, v26, v38
	v_fmac_f32_e32 v32, v29, v39
	v_mul_f32_e32 v21, v30, v36
	s_mov_b32 vcc_lo, s3
	v_div_fixup_f32 v10, v10, v14, v25
	v_div_fmas_f32 v13, v13, v31, v41
	v_fma_f32 v19, -v24, v32, v42
	v_fma_f32 v26, -v40, v21, v30
	s_mov_b32 vcc_lo, s8
	v_add_f32_e32 v8, v18, v8
	v_div_fixup_f32 v13, v13, v23, v27
	v_div_fmas_f32 v19, v19, v39, v32
	v_fmac_f32_e32 v21, v26, v36
	s_mov_b32 vcc_lo, s0
	v_add_f32_e32 v8, v8, v16
	v_add_f32_e32 v9, v9, v13
	v_div_fixup_f32 v11, v19, v28, v11
	v_fma_f32 v17, -v40, v21, v30
	v_add_f32_e32 v4, v4, v12
	v_add_f32_e32 v9, v11, v9
	v_div_fmas_f32 v13, v17, v36, v21
	v_add_f32_e32 v17, v15, v10
	v_div_fixup_f32 v15, v20, v14, v22
	v_cmp_lt_f32_e32 vcc_lo, v3, v7
	v_div_fixup_f32 v1, v13, v14, v1
	v_add_f32_e32 v18, v15, v8
	v_cndmask_b32_e32 v3, v3, v7, vcc_lo
	v_add_f32_e32 v19, v1, v9
	v_mov_b32_e32 v1, v14
.LBB17_36:
	s_or_b32 exec_lo, exec_lo, s10
	v_cmp_gt_u32_e32 vcc_lo, 28, v5
	v_add_nc_u32_e32 v14, 4, v5
	s_mov_b32 s10, exec_lo
	s_waitcnt lgkmcnt(4)
	v_cndmask_b32_e64 v7, 0, 4, vcc_lo
	s_waitcnt lgkmcnt(0)
	v_add_lshl_u32 v9, v7, v5, 2
	ds_bpermute_b32 v10, v9, v1
	ds_bpermute_b32 v12, v9, v2
	;; [unrolled: 1-line block ×7, first 2 shown]
	v_cmpx_lt_u32_e64 v14, v6
	s_cbranch_execz .LBB17_38
; %bb.37:
	s_waitcnt lgkmcnt(3)
	v_sub_f32_e32 v13, v13, v4
	v_cmp_gt_f32_e32 vcc_lo, v2, v12
	v_add_f32_e32 v14, v1, v10
	v_mul_f32_e32 v22, v17, v10
	v_mul_f32_e32 v23, v1, v1
	;; [unrolled: 1-line block ×3, first 2 shown]
	v_cndmask_b32_e32 v2, v2, v12, vcc_lo
	v_mul_f32_e32 v12, v13, v10
	v_mul_f32_e32 v29, 0x40400000, v13
	s_waitcnt lgkmcnt(2)
	v_fma_f32 v22, v1, v11, -v22
	v_mul_f32_e32 v25, v1, v20
	v_mul_f32_e32 v27, v13, v20
	v_div_scale_f32 v21, null, v14, v14, v12
	v_div_scale_f32 v34, vcc_lo, v12, v14, v12
	v_mul_f32_e32 v25, v25, v10
	v_rcp_f32_e32 v26, v21
	v_mul_f32_e32 v22, v29, v22
	v_mul_f32_e32 v30, v1, v27
	;; [unrolled: 1-line block ×3, first 2 shown]
	v_div_scale_f32 v32, null, v14, v14, v25
	v_sub_f32_e32 v16, v1, v10
	v_fma_f32 v31, -v1, v10, v23
	v_mul_f32_e32 v30, v30, v10
	v_rcp_f32_e32 v35, v32
	v_fma_f32 v33, -v21, v26, 1.0
	v_mul_f32_e32 v27, v1, v27
	v_add_f32_e32 v15, v17, v11
	v_mul_f32_e32 v24, v10, v10
	v_mul_f32_e32 v28, v14, v14
	v_fmac_f32_e32 v26, v33, v26
	v_mul_f32_e32 v11, v23, v11
	v_mul_f32_e32 v16, v16, v30
	v_fmac_f32_e32 v31, v10, v10
	v_fma_f32 v33, -v32, v35, 1.0
	v_mul_f32_e32 v29, v34, v26
	v_mul_f32_e32 v27, v27, v10
	;; [unrolled: 1-line block ×3, first 2 shown]
	v_div_scale_f32 v30, null, v28, v28, v16
	v_fma_f32 v36, -v21, v29, v34
	v_fmac_f32_e32 v35, v33, v35
	v_div_scale_f32 v33, null, v14, v14, v22
	v_mul_f32_e32 v27, v31, v27
	v_fmac_f32_e32 v29, v36, v26
	v_mul_f32_e32 v20, 0x40c00000, v20
	v_fmac_f32_e32 v11, v17, v24
	v_rcp_f32_e32 v37, v30
	v_div_scale_f32 v38, s0, v25, v14, v25
	v_fma_f32 v21, -v21, v29, v34
	v_mul_f32_e32 v11, v20, v11
	v_mul_f32_e32 v10, v18, v10
	;; [unrolled: 1-line block ×3, first 2 shown]
	v_mul_f32_e32 v13, 4.0, v13
	v_div_fmas_f32 v21, v21, v26, v29
	v_rcp_f32_e32 v26, v33
	v_fma_f32 v36, -v30, v37, 1.0
	s_waitcnt lgkmcnt(1)
	v_fma_f32 v1, v1, v8, -v10
	v_fma_f32 v29, -v32, v34, v38
	v_div_fixup_f32 v12, v21, v14, v12
	v_div_scale_f32 v21, null, v23, v23, v27
	v_fmac_f32_e32 v37, v36, v37
	v_div_scale_f32 v17, s1, v16, v28, v16
	v_fma_f32 v24, -v33, v26, 1.0
	v_rcp_f32_e32 v31, v21
	v_mul_f32_e32 v1, v13, v1
	v_fmac_f32_e32 v34, v29, v35
	v_mul_f32_e32 v20, v17, v37
	v_fmac_f32_e32 v26, v24, v26
	v_div_scale_f32 v24, null, v28, v28, v11
	v_div_scale_f32 v40, null, v14, v14, v1
	v_div_scale_f32 v29, s2, v22, v14, v22
	v_rcp_f32_e32 v39, v24
	v_fma_f32 v36, -v21, v31, 1.0
	v_fma_f32 v10, -v32, v34, v38
	v_fma_f32 v32, -v30, v20, v17
	v_div_scale_f32 v13, s3, v27, v23, v27
	v_fmac_f32_e32 v31, v36, v31
	v_mul_f32_e32 v38, v29, v26
	v_fmac_f32_e32 v20, v32, v37
	s_mov_b32 vcc_lo, s0
	v_fma_f32 v36, -v24, v39, 1.0
	v_mul_f32_e32 v41, v13, v31
	v_fma_f32 v32, -v33, v38, v29
	v_div_scale_f32 v42, s8, v11, v28, v11
	v_fmac_f32_e32 v39, v36, v39
	v_rcp_f32_e32 v36, v40
	v_div_fmas_f32 v10, v10, v35, v34
	v_fma_f32 v17, -v30, v20, v17
	v_fma_f32 v30, -v21, v41, v13
	v_fmac_f32_e32 v38, v32, v26
	v_mul_f32_e32 v32, v42, v39
	s_mov_b32 vcc_lo, s1
	s_waitcnt lgkmcnt(0)
	v_add_f32_e32 v9, v19, v9
	v_fmac_f32_e32 v41, v30, v31
	v_div_scale_f32 v30, s0, v1, v14, v1
	v_fma_f32 v34, -v40, v36, 1.0
	v_div_fmas_f32 v17, v17, v37, v20
	v_fma_f32 v20, -v33, v38, v29
	v_fma_f32 v29, -v24, v32, v42
	;; [unrolled: 1-line block ×3, first 2 shown]
	v_fmac_f32_e32 v36, v34, v36
	s_mov_b32 vcc_lo, s2
	v_div_fixup_f32 v16, v17, v28, v16
	v_div_fmas_f32 v20, v20, v26, v38
	v_fmac_f32_e32 v32, v29, v39
	v_mul_f32_e32 v21, v30, v36
	s_mov_b32 vcc_lo, s3
	v_div_fixup_f32 v10, v10, v14, v25
	v_div_fmas_f32 v13, v13, v31, v41
	v_fma_f32 v19, -v24, v32, v42
	v_fma_f32 v26, -v40, v21, v30
	s_mov_b32 vcc_lo, s8
	v_add_f32_e32 v8, v18, v8
	v_div_fixup_f32 v13, v13, v23, v27
	v_div_fmas_f32 v19, v19, v39, v32
	v_fmac_f32_e32 v21, v26, v36
	s_mov_b32 vcc_lo, s0
	v_add_f32_e32 v8, v8, v16
	v_add_f32_e32 v9, v9, v13
	v_div_fixup_f32 v11, v19, v28, v11
	v_fma_f32 v17, -v40, v21, v30
	v_add_f32_e32 v4, v4, v12
	v_add_f32_e32 v9, v11, v9
	v_div_fmas_f32 v13, v17, v36, v21
	v_add_f32_e32 v17, v15, v10
	v_div_fixup_f32 v15, v20, v14, v22
	v_cmp_lt_f32_e32 vcc_lo, v3, v7
	v_div_fixup_f32 v1, v13, v14, v1
	v_add_f32_e32 v18, v15, v8
	v_cndmask_b32_e32 v3, v3, v7, vcc_lo
	v_add_f32_e32 v19, v1, v9
	v_mov_b32_e32 v1, v14
.LBB17_38:
	s_or_b32 exec_lo, exec_lo, s10
	v_cmp_gt_u32_e32 vcc_lo, 24, v5
	v_add_nc_u32_e32 v14, 8, v5
	s_mov_b32 s10, exec_lo
	s_waitcnt lgkmcnt(4)
	v_cndmask_b32_e64 v7, 0, 8, vcc_lo
	s_waitcnt lgkmcnt(0)
	v_add_lshl_u32 v9, v7, v5, 2
	ds_bpermute_b32 v10, v9, v1
	ds_bpermute_b32 v12, v9, v2
	;; [unrolled: 1-line block ×7, first 2 shown]
	v_cmpx_lt_u32_e64 v14, v6
	s_cbranch_execz .LBB17_40
; %bb.39:
	s_waitcnt lgkmcnt(3)
	v_sub_f32_e32 v13, v13, v4
	v_cmp_gt_f32_e32 vcc_lo, v2, v12
	v_add_f32_e32 v14, v1, v10
	v_mul_f32_e32 v22, v17, v10
	v_mul_f32_e32 v23, v1, v1
	;; [unrolled: 1-line block ×3, first 2 shown]
	v_cndmask_b32_e32 v2, v2, v12, vcc_lo
	v_mul_f32_e32 v12, v13, v10
	v_mul_f32_e32 v29, 0x40400000, v13
	s_waitcnt lgkmcnt(2)
	v_fma_f32 v22, v1, v11, -v22
	v_mul_f32_e32 v25, v1, v20
	v_mul_f32_e32 v27, v13, v20
	v_div_scale_f32 v21, null, v14, v14, v12
	v_div_scale_f32 v34, vcc_lo, v12, v14, v12
	v_mul_f32_e32 v25, v25, v10
	v_rcp_f32_e32 v26, v21
	v_mul_f32_e32 v22, v29, v22
	v_mul_f32_e32 v30, v1, v27
	;; [unrolled: 1-line block ×3, first 2 shown]
	v_div_scale_f32 v32, null, v14, v14, v25
	v_sub_f32_e32 v16, v1, v10
	v_fma_f32 v31, -v1, v10, v23
	v_mul_f32_e32 v30, v30, v10
	v_rcp_f32_e32 v35, v32
	v_fma_f32 v33, -v21, v26, 1.0
	v_mul_f32_e32 v27, v1, v27
	v_add_f32_e32 v15, v17, v11
	v_mul_f32_e32 v24, v10, v10
	v_mul_f32_e32 v28, v14, v14
	v_fmac_f32_e32 v26, v33, v26
	v_mul_f32_e32 v11, v23, v11
	v_mul_f32_e32 v16, v16, v30
	v_fmac_f32_e32 v31, v10, v10
	v_fma_f32 v33, -v32, v35, 1.0
	v_mul_f32_e32 v29, v34, v26
	v_mul_f32_e32 v27, v27, v10
	;; [unrolled: 1-line block ×3, first 2 shown]
	v_div_scale_f32 v30, null, v28, v28, v16
	v_fma_f32 v36, -v21, v29, v34
	v_fmac_f32_e32 v35, v33, v35
	v_div_scale_f32 v33, null, v14, v14, v22
	v_mul_f32_e32 v27, v31, v27
	v_fmac_f32_e32 v29, v36, v26
	v_mul_f32_e32 v20, 0x40c00000, v20
	v_fmac_f32_e32 v11, v17, v24
	v_rcp_f32_e32 v37, v30
	v_div_scale_f32 v38, s0, v25, v14, v25
	v_fma_f32 v21, -v21, v29, v34
	v_mul_f32_e32 v11, v20, v11
	v_mul_f32_e32 v10, v18, v10
	;; [unrolled: 1-line block ×3, first 2 shown]
	v_mul_f32_e32 v13, 4.0, v13
	v_div_fmas_f32 v21, v21, v26, v29
	v_rcp_f32_e32 v26, v33
	v_fma_f32 v36, -v30, v37, 1.0
	s_waitcnt lgkmcnt(1)
	v_fma_f32 v1, v1, v8, -v10
	v_fma_f32 v29, -v32, v34, v38
	v_div_fixup_f32 v12, v21, v14, v12
	v_div_scale_f32 v21, null, v23, v23, v27
	v_fmac_f32_e32 v37, v36, v37
	v_div_scale_f32 v17, s1, v16, v28, v16
	v_fma_f32 v24, -v33, v26, 1.0
	v_rcp_f32_e32 v31, v21
	v_mul_f32_e32 v1, v13, v1
	v_fmac_f32_e32 v34, v29, v35
	v_mul_f32_e32 v20, v17, v37
	v_fmac_f32_e32 v26, v24, v26
	v_div_scale_f32 v24, null, v28, v28, v11
	v_div_scale_f32 v40, null, v14, v14, v1
	v_div_scale_f32 v29, s2, v22, v14, v22
	v_rcp_f32_e32 v39, v24
	v_fma_f32 v36, -v21, v31, 1.0
	v_fma_f32 v10, -v32, v34, v38
	v_fma_f32 v32, -v30, v20, v17
	v_div_scale_f32 v13, s3, v27, v23, v27
	v_fmac_f32_e32 v31, v36, v31
	v_mul_f32_e32 v38, v29, v26
	v_fmac_f32_e32 v20, v32, v37
	s_mov_b32 vcc_lo, s0
	v_fma_f32 v36, -v24, v39, 1.0
	v_mul_f32_e32 v41, v13, v31
	v_fma_f32 v32, -v33, v38, v29
	v_div_scale_f32 v42, s8, v11, v28, v11
	v_fmac_f32_e32 v39, v36, v39
	v_rcp_f32_e32 v36, v40
	v_div_fmas_f32 v10, v10, v35, v34
	v_fma_f32 v17, -v30, v20, v17
	v_fma_f32 v30, -v21, v41, v13
	v_fmac_f32_e32 v38, v32, v26
	v_mul_f32_e32 v32, v42, v39
	s_mov_b32 vcc_lo, s1
	s_waitcnt lgkmcnt(0)
	v_add_f32_e32 v9, v19, v9
	v_fmac_f32_e32 v41, v30, v31
	v_div_scale_f32 v30, s0, v1, v14, v1
	v_fma_f32 v34, -v40, v36, 1.0
	v_div_fmas_f32 v17, v17, v37, v20
	v_fma_f32 v20, -v33, v38, v29
	v_fma_f32 v29, -v24, v32, v42
	;; [unrolled: 1-line block ×3, first 2 shown]
	v_fmac_f32_e32 v36, v34, v36
	s_mov_b32 vcc_lo, s2
	v_div_fixup_f32 v16, v17, v28, v16
	v_div_fmas_f32 v20, v20, v26, v38
	v_fmac_f32_e32 v32, v29, v39
	v_mul_f32_e32 v21, v30, v36
	s_mov_b32 vcc_lo, s3
	v_div_fixup_f32 v10, v10, v14, v25
	v_div_fmas_f32 v13, v13, v31, v41
	v_fma_f32 v19, -v24, v32, v42
	v_fma_f32 v26, -v40, v21, v30
	s_mov_b32 vcc_lo, s8
	v_add_f32_e32 v8, v18, v8
	v_div_fixup_f32 v13, v13, v23, v27
	v_div_fmas_f32 v19, v19, v39, v32
	v_fmac_f32_e32 v21, v26, v36
	s_mov_b32 vcc_lo, s0
	v_add_f32_e32 v8, v8, v16
	v_add_f32_e32 v9, v9, v13
	v_div_fixup_f32 v11, v19, v28, v11
	v_fma_f32 v17, -v40, v21, v30
	v_add_f32_e32 v4, v4, v12
	v_add_f32_e32 v9, v11, v9
	v_div_fmas_f32 v13, v17, v36, v21
	v_add_f32_e32 v17, v15, v10
	v_div_fixup_f32 v15, v20, v14, v22
	v_cmp_lt_f32_e32 vcc_lo, v3, v7
	v_div_fixup_f32 v1, v13, v14, v1
	v_add_f32_e32 v18, v15, v8
	v_cndmask_b32_e32 v3, v3, v7, vcc_lo
	v_add_f32_e32 v19, v1, v9
	v_mov_b32_e32 v1, v14
.LBB17_40:
	s_or_b32 exec_lo, exec_lo, s10
	s_waitcnt lgkmcnt(4)
	v_lshlrev_b32_e32 v7, 2, v5
	v_add_nc_u32_e32 v15, 16, v5
	s_mov_b32 s10, exec_lo
	v_or_b32_e32 v10, 64, v7
	s_waitcnt lgkmcnt(2)
	ds_bpermute_b32 v11, v10, v1
	ds_bpermute_b32 v13, v10, v2
	s_waitcnt lgkmcnt(3)
	ds_bpermute_b32 v8, v10, v3
	ds_bpermute_b32 v14, v10, v4
	;; [unrolled: 1-line block ×3, first 2 shown]
	s_waitcnt lgkmcnt(5)
	ds_bpermute_b32 v9, v10, v18
	ds_bpermute_b32 v10, v10, v19
	v_cmpx_lt_u32_e64 v15, v6
	s_cbranch_execz .LBB17_42
; %bb.41:
	s_waitcnt lgkmcnt(3)
	v_sub_f32_e32 v6, v14, v4
	v_cmp_gt_f32_e32 vcc_lo, v2, v13
	v_add_f32_e32 v14, v1, v11
	v_mul_f32_e32 v22, v17, v11
	v_mul_f32_e32 v23, v1, v1
	;; [unrolled: 1-line block ×3, first 2 shown]
	v_cndmask_b32_e32 v2, v2, v13, vcc_lo
	v_mul_f32_e32 v13, v6, v11
	v_mul_f32_e32 v29, 0x40400000, v6
	s_waitcnt lgkmcnt(2)
	v_fma_f32 v22, v1, v12, -v22
	v_mul_f32_e32 v25, v1, v20
	v_mul_f32_e32 v27, v6, v20
	v_div_scale_f32 v21, null, v14, v14, v13
	v_div_scale_f32 v34, vcc_lo, v13, v14, v13
	v_mul_f32_e32 v25, v25, v11
	v_rcp_f32_e32 v26, v21
	v_mul_f32_e32 v22, v29, v22
	v_mul_f32_e32 v30, v1, v27
	;; [unrolled: 1-line block ×3, first 2 shown]
	v_div_scale_f32 v32, null, v14, v14, v25
	v_sub_f32_e32 v16, v1, v11
	v_fma_f32 v31, -v1, v11, v23
	v_mul_f32_e32 v30, v30, v11
	v_rcp_f32_e32 v35, v32
	v_fma_f32 v33, -v21, v26, 1.0
	v_mul_f32_e32 v27, v1, v27
	v_add_f32_e32 v15, v17, v12
	v_mul_f32_e32 v24, v11, v11
	v_mul_f32_e32 v28, v14, v14
	v_fmac_f32_e32 v26, v33, v26
	v_mul_f32_e32 v12, v23, v12
	v_mul_f32_e32 v16, v16, v30
	v_fmac_f32_e32 v31, v11, v11
	v_fma_f32 v33, -v32, v35, 1.0
	v_mul_f32_e32 v29, v34, v26
	v_mul_f32_e32 v27, v27, v11
	;; [unrolled: 1-line block ×3, first 2 shown]
	v_div_scale_f32 v30, null, v28, v28, v16
	v_fma_f32 v36, -v21, v29, v34
	v_fmac_f32_e32 v35, v33, v35
	v_div_scale_f32 v33, null, v14, v14, v22
	v_mul_f32_e32 v27, v31, v27
	v_fmac_f32_e32 v29, v36, v26
	v_mul_f32_e32 v20, 0x40c00000, v20
	v_fmac_f32_e32 v12, v17, v24
	v_rcp_f32_e32 v37, v30
	v_div_scale_f32 v38, s0, v25, v14, v25
	v_fma_f32 v21, -v21, v29, v34
	v_mul_f32_e32 v12, v20, v12
	v_mul_f32_e32 v11, v18, v11
	;; [unrolled: 1-line block ×3, first 2 shown]
	v_mul_f32_e32 v6, 4.0, v6
	v_div_fmas_f32 v21, v21, v26, v29
	v_rcp_f32_e32 v26, v33
	v_fma_f32 v36, -v30, v37, 1.0
	s_waitcnt lgkmcnt(1)
	v_fma_f32 v1, v1, v9, -v11
	v_fma_f32 v29, -v32, v34, v38
	v_div_fixup_f32 v13, v21, v14, v13
	v_div_scale_f32 v21, null, v23, v23, v27
	v_fmac_f32_e32 v37, v36, v37
	v_div_scale_f32 v17, s1, v16, v28, v16
	v_fma_f32 v24, -v33, v26, 1.0
	v_rcp_f32_e32 v31, v21
	v_mul_f32_e32 v1, v6, v1
	v_fmac_f32_e32 v34, v29, v35
	v_mul_f32_e32 v20, v17, v37
	v_fmac_f32_e32 v26, v24, v26
	v_div_scale_f32 v24, null, v28, v28, v12
	v_div_scale_f32 v40, null, v14, v14, v1
	v_div_scale_f32 v29, s2, v22, v14, v22
	v_rcp_f32_e32 v39, v24
	v_fma_f32 v36, -v21, v31, 1.0
	v_fma_f32 v11, -v32, v34, v38
	v_fma_f32 v32, -v30, v20, v17
	v_div_scale_f32 v6, s3, v27, v23, v27
	v_fmac_f32_e32 v31, v36, v31
	v_mul_f32_e32 v38, v29, v26
	v_fmac_f32_e32 v20, v32, v37
	s_mov_b32 vcc_lo, s0
	v_fma_f32 v36, -v24, v39, 1.0
	v_mul_f32_e32 v41, v6, v31
	v_fma_f32 v32, -v33, v38, v29
	v_div_scale_f32 v42, s8, v12, v28, v12
	v_fmac_f32_e32 v39, v36, v39
	v_rcp_f32_e32 v36, v40
	v_div_fmas_f32 v11, v11, v35, v34
	v_fma_f32 v17, -v30, v20, v17
	v_fma_f32 v30, -v21, v41, v6
	v_fmac_f32_e32 v38, v32, v26
	v_mul_f32_e32 v32, v42, v39
	s_mov_b32 vcc_lo, s1
	s_waitcnt lgkmcnt(0)
	v_add_f32_e32 v10, v19, v10
	v_fmac_f32_e32 v41, v30, v31
	v_div_scale_f32 v30, s0, v1, v14, v1
	v_fma_f32 v34, -v40, v36, 1.0
	v_div_fmas_f32 v17, v17, v37, v20
	v_fma_f32 v20, -v33, v38, v29
	v_fma_f32 v29, -v24, v32, v42
	;; [unrolled: 1-line block ×3, first 2 shown]
	v_fmac_f32_e32 v36, v34, v36
	s_mov_b32 vcc_lo, s2
	v_div_fixup_f32 v16, v17, v28, v16
	v_div_fmas_f32 v20, v20, v26, v38
	v_fmac_f32_e32 v32, v29, v39
	v_mul_f32_e32 v21, v30, v36
	s_mov_b32 vcc_lo, s3
	v_div_fixup_f32 v11, v11, v14, v25
	v_div_fmas_f32 v6, v6, v31, v41
	v_fma_f32 v19, -v24, v32, v42
	v_fma_f32 v26, -v40, v21, v30
	s_mov_b32 vcc_lo, s8
	v_add_f32_e32 v9, v18, v9
	v_div_fixup_f32 v6, v6, v23, v27
	v_div_fmas_f32 v19, v19, v39, v32
	v_fmac_f32_e32 v21, v26, v36
	s_mov_b32 vcc_lo, s0
	v_add_f32_e32 v9, v9, v16
	v_add_f32_e32 v6, v10, v6
	v_div_fixup_f32 v10, v19, v28, v12
	v_fma_f32 v17, -v40, v21, v30
	v_add_f32_e32 v4, v4, v13
	v_add_f32_e32 v6, v10, v6
	v_div_fmas_f32 v12, v17, v36, v21
	v_add_f32_e32 v17, v15, v11
	v_div_fixup_f32 v15, v20, v14, v22
	v_cmp_lt_f32_e32 vcc_lo, v3, v8
	v_div_fixup_f32 v1, v12, v14, v1
	v_add_f32_e32 v18, v15, v9
	v_cndmask_b32_e32 v3, v3, v8, vcc_lo
	v_add_f32_e32 v19, v1, v6
	v_mov_b32_e32 v1, v14
.LBB17_42:
	s_or_b32 exec_lo, exec_lo, s10
	s_mov_b32 s0, exec_lo
	v_cmpx_eq_u32_e32 0, v5
	s_cbranch_execz .LBB17_44
; %bb.43:
	v_lshrrev_b32_e32 v6, 5, v0
	v_mul_u32_u24_e32 v6, 28, v6
	ds_write2_b32 v6, v1, v2 offset1:1
	ds_write2_b32 v6, v3, v4 offset0:2 offset1:3
	ds_write2_b32 v6, v17, v18 offset0:4 offset1:5
	ds_write_b32 v6, v19 offset:24
.LBB17_44:
	s_or_b32 exec_lo, exec_lo, s0
	s_mov_b32 s10, exec_lo
	s_waitcnt lgkmcnt(0)
	s_barrier
	buffer_gl0_inv
	v_cmpx_gt_u32_e32 8, v0
	s_cbranch_execz .LBB17_52
; %bb.45:
	v_mul_u32_u24_e32 v8, 28, v5
	v_and_b32_e32 v6, 7, v5
	s_add_i32 s9, s9, 31
	ds_read2_b32 v[1:2], v8 offset1:1
	ds_read2_b32 v[3:4], v8 offset0:2 offset1:3
	ds_read2_b32 v[17:18], v8 offset0:4 offset1:5
	ds_read_b32 v19, v8 offset:24
	v_cmp_ne_u32_e32 vcc_lo, 7, v6
	s_lshr_b32 s9, s9, 5
	v_add_co_ci_u32_e64 v8, null, 0, v5, vcc_lo
	v_lshlrev_b32_e32 v8, 2, v8
	s_waitcnt lgkmcnt(3)
	ds_bpermute_b32 v12, v8, v1
	ds_bpermute_b32 v16, v8, v2
	s_waitcnt lgkmcnt(4)
	ds_bpermute_b32 v9, v8, v3
	ds_bpermute_b32 v20, v8, v4
	;; [unrolled: 3-line block ×3, first 2 shown]
	s_waitcnt lgkmcnt(6)
	ds_bpermute_b32 v11, v8, v19
	v_add_nc_u32_e32 v8, 1, v6
	v_mov_b32_e32 v15, v18
	v_mov_b32_e32 v14, v17
	v_cmp_gt_u32_e32 vcc_lo, s9, v8
	v_mov_b32_e32 v8, v1
	s_and_saveexec_b32 s19, vcc_lo
	s_cbranch_execz .LBB17_47
; %bb.46:
	s_waitcnt lgkmcnt(3)
	v_sub_f32_e32 v14, v20, v4
	v_add_f32_e32 v8, v1, v12
	v_cmp_gt_f32_e32 vcc_lo, v2, v16
	v_mul_f32_e32 v23, v17, v12
	v_mul_f32_e32 v24, v1, v1
	;; [unrolled: 1-line block ×4, first 2 shown]
	v_cndmask_b32_e32 v2, v2, v16, vcc_lo
	v_mul_f32_e32 v30, 0x40400000, v14
	s_waitcnt lgkmcnt(2)
	v_fma_f32 v23, v1, v13, -v23
	v_div_scale_f32 v22, null, v8, v8, v15
	v_mul_f32_e32 v26, v1, v21
	v_div_scale_f32 v35, vcc_lo, v15, v8, v15
	v_rcp_f32_e32 v27, v22
	v_mul_f32_e32 v23, v30, v23
	v_mul_f32_e32 v26, v26, v12
	;; [unrolled: 1-line block ×3, first 2 shown]
	v_sub_f32_e32 v20, v1, v12
	v_fma_f32 v32, -v1, v12, v24
	v_add_f32_e32 v16, v17, v13
	v_div_scale_f32 v33, null, v8, v8, v26
	v_mul_f32_e32 v31, v1, v28
	v_fma_f32 v34, -v22, v27, 1.0
	v_mul_f32_e32 v28, v14, v28
	v_rcp_f32_e32 v36, v33
	v_mul_f32_e32 v25, v12, v12
	v_mul_f32_e32 v31, v31, v12
	v_fmac_f32_e32 v27, v34, v27
	v_mul_f32_e32 v28, v1, v28
	v_mul_f32_e32 v29, v8, v8
	v_mul_f32_e32 v13, v24, v13
	v_mul_f32_e32 v20, v20, v31
	v_mul_f32_e32 v30, v35, v27
	v_fmac_f32_e32 v32, v12, v12
	v_fma_f32 v34, -v33, v36, 1.0
	v_mul_f32_e32 v28, v28, v12
	v_mul_f32_e32 v24, v8, v29
	v_fma_f32 v37, -v22, v30, v35
	v_div_scale_f32 v31, null, v29, v29, v20
	v_fmac_f32_e32 v36, v34, v36
	v_div_scale_f32 v34, null, v8, v8, v23
	v_fmac_f32_e32 v30, v37, v27
	v_mul_f32_e32 v28, v32, v28
	v_mul_f32_e32 v21, 0x40c00000, v21
	v_fmac_f32_e32 v13, v17, v25
	v_rcp_f32_e32 v38, v31
	v_fma_f32 v22, -v22, v30, v35
	v_div_scale_f32 v39, s0, v26, v8, v26
	v_mul_f32_e32 v13, v21, v13
	v_mul_f32_e32 v12, v18, v12
	v_div_fmas_f32 v22, v22, v27, v30
	v_rcp_f32_e32 v27, v34
	v_mul_f32_e32 v35, v39, v36
	v_mul_f32_e32 v14, 4.0, v14
	v_fma_f32 v37, -v31, v38, 1.0
	v_div_fixup_f32 v22, v22, v8, v15
	v_div_scale_f32 v15, null, v24, v24, v28
	s_waitcnt lgkmcnt(1)
	v_fma_f32 v1, v1, v10, -v12
	v_fma_f32 v30, -v33, v35, v39
	v_fmac_f32_e32 v38, v37, v38
	v_fma_f32 v25, -v34, v27, 1.0
	v_rcp_f32_e32 v32, v15
	v_div_scale_f32 v17, s1, v20, v29, v20
	v_mul_f32_e32 v1, v14, v1
	v_fmac_f32_e32 v27, v25, v27
	v_div_scale_f32 v25, null, v29, v29, v13
	v_fmac_f32_e32 v35, v30, v36
	v_mul_f32_e32 v21, v17, v38
	v_div_scale_f32 v41, null, v8, v8, v1
	v_rcp_f32_e32 v40, v25
	v_fma_f32 v37, -v15, v32, 1.0
	v_div_scale_f32 v30, s2, v23, v8, v23
	v_fma_f32 v12, -v33, v35, v39
	v_fma_f32 v33, -v31, v21, v17
	v_fmac_f32_e32 v32, v37, v32
	v_div_scale_f32 v14, s3, v28, v24, v28
	v_mul_f32_e32 v39, v30, v27
	v_fma_f32 v37, -v25, v40, 1.0
	v_fmac_f32_e32 v21, v33, v38
	v_mul_f32_e32 v42, v14, v32
	s_mov_b32 vcc_lo, s0
	v_fma_f32 v33, -v34, v39, v30
	v_fmac_f32_e32 v40, v37, v40
	v_rcp_f32_e32 v37, v41
	v_div_scale_f32 v43, s8, v13, v29, v13
	v_div_fmas_f32 v12, v12, v36, v35
	v_fma_f32 v17, -v31, v21, v17
	v_fma_f32 v31, -v15, v42, v14
	v_fmac_f32_e32 v39, v33, v27
	v_mul_f32_e32 v33, v43, v40
	s_mov_b32 vcc_lo, s1
	s_waitcnt lgkmcnt(0)
	v_add_f32_e32 v11, v19, v11
	v_fma_f32 v35, -v41, v37, 1.0
	v_fmac_f32_e32 v42, v31, v32
	v_div_scale_f32 v31, s0, v1, v8, v1
	v_div_fmas_f32 v17, v17, v38, v21
	v_fmac_f32_e32 v37, v35, v37
	v_fma_f32 v21, -v34, v39, v30
	v_fma_f32 v30, -v25, v33, v43
	;; [unrolled: 1-line block ×3, first 2 shown]
	s_mov_b32 vcc_lo, s2
	v_mul_f32_e32 v15, v31, v37
	v_div_fmas_f32 v21, v21, v27, v39
	v_fmac_f32_e32 v33, v30, v40
	s_mov_b32 vcc_lo, s3
	v_div_fixup_f32 v12, v12, v8, v26
	v_fma_f32 v27, -v41, v15, v31
	v_div_fmas_f32 v14, v14, v32, v42
	v_fma_f32 v19, -v25, v33, v43
	s_mov_b32 vcc_lo, s8
	v_add_f32_e32 v10, v18, v10
	v_fmac_f32_e32 v15, v27, v37
	v_div_fixup_f32 v14, v14, v24, v28
	v_div_fmas_f32 v19, v19, v40, v33
	v_div_fixup_f32 v17, v17, v29, v20
	s_mov_b32 vcc_lo, s0
	v_fma_f32 v18, -v41, v15, v31
	v_add_f32_e32 v11, v11, v14
	v_div_fixup_f32 v13, v19, v29, v13
	v_add_f32_e32 v14, v16, v12
	v_add_f32_e32 v10, v10, v17
	v_div_fmas_f32 v15, v18, v37, v15
	v_div_fixup_f32 v12, v21, v8, v23
	v_add_f32_e32 v11, v13, v11
	v_cmp_lt_f32_e32 vcc_lo, v3, v9
	v_add_f32_e32 v4, v4, v22
	v_div_fixup_f32 v1, v15, v8, v1
	v_add_f32_e32 v15, v12, v10
	v_mov_b32_e32 v17, v14
	v_cndmask_b32_e32 v3, v3, v9, vcc_lo
	v_add_f32_e32 v19, v1, v11
	v_mov_b32_e32 v1, v8
	v_mov_b32_e32 v18, v15
.LBB17_47:
	s_or_b32 exec_lo, exec_lo, s19
	v_cmp_gt_u32_e32 vcc_lo, 6, v6
	s_waitcnt lgkmcnt(3)
	v_add_nc_u32_e32 v20, 2, v6
	s_mov_b32 s19, exec_lo
	v_cndmask_b32_e64 v9, 0, 2, vcc_lo
	s_waitcnt lgkmcnt(1)
	v_add_lshl_u32 v10, v9, v5, 2
	s_waitcnt lgkmcnt(0)
	ds_bpermute_b32 v11, v10, v8
	ds_bpermute_b32 v13, v10, v2
	;; [unrolled: 1-line block ×7, first 2 shown]
	v_cmpx_gt_u32_e64 s9, v20
	s_cbranch_execz .LBB17_49
; %bb.48:
	s_waitcnt lgkmcnt(3)
	v_sub_f32_e32 v14, v16, v4
	v_cmp_gt_f32_e32 vcc_lo, v2, v13
	v_add_f32_e32 v8, v1, v11
	v_mul_f32_e32 v22, v17, v11
	v_mul_f32_e32 v23, v1, v1
	;; [unrolled: 1-line block ×3, first 2 shown]
	v_cndmask_b32_e32 v2, v2, v13, vcc_lo
	v_mul_f32_e32 v13, v14, v11
	v_mul_f32_e32 v29, 0x40400000, v14
	s_waitcnt lgkmcnt(2)
	v_fma_f32 v22, v1, v12, -v22
	v_mul_f32_e32 v25, v1, v20
	v_mul_f32_e32 v27, v14, v20
	v_div_scale_f32 v21, null, v8, v8, v13
	v_div_scale_f32 v34, vcc_lo, v13, v8, v13
	v_mul_f32_e32 v25, v25, v11
	v_rcp_f32_e32 v26, v21
	v_mul_f32_e32 v22, v29, v22
	v_mul_f32_e32 v30, v1, v27
	;; [unrolled: 1-line block ×3, first 2 shown]
	v_div_scale_f32 v32, null, v8, v8, v25
	v_sub_f32_e32 v16, v1, v11
	v_fma_f32 v31, -v1, v11, v23
	v_mul_f32_e32 v30, v30, v11
	v_rcp_f32_e32 v35, v32
	v_fma_f32 v33, -v21, v26, 1.0
	v_mul_f32_e32 v27, v1, v27
	v_add_f32_e32 v15, v17, v12
	v_mul_f32_e32 v24, v11, v11
	v_mul_f32_e32 v28, v8, v8
	v_fmac_f32_e32 v26, v33, v26
	v_mul_f32_e32 v12, v23, v12
	v_mul_f32_e32 v16, v16, v30
	v_fmac_f32_e32 v31, v11, v11
	v_fma_f32 v33, -v32, v35, 1.0
	v_mul_f32_e32 v29, v34, v26
	v_mul_f32_e32 v27, v27, v11
	;; [unrolled: 1-line block ×3, first 2 shown]
	v_div_scale_f32 v30, null, v28, v28, v16
	v_fma_f32 v36, -v21, v29, v34
	v_fmac_f32_e32 v35, v33, v35
	v_div_scale_f32 v33, null, v8, v8, v22
	v_mul_f32_e32 v27, v31, v27
	v_fmac_f32_e32 v29, v36, v26
	v_mul_f32_e32 v20, 0x40c00000, v20
	v_fmac_f32_e32 v12, v17, v24
	v_rcp_f32_e32 v37, v30
	v_div_scale_f32 v38, s0, v25, v8, v25
	v_fma_f32 v21, -v21, v29, v34
	v_mul_f32_e32 v12, v20, v12
	v_mul_f32_e32 v11, v18, v11
	;; [unrolled: 1-line block ×3, first 2 shown]
	v_mul_f32_e32 v14, 4.0, v14
	v_div_fmas_f32 v21, v21, v26, v29
	v_rcp_f32_e32 v26, v33
	v_fma_f32 v36, -v30, v37, 1.0
	s_waitcnt lgkmcnt(1)
	v_fma_f32 v1, v1, v9, -v11
	v_fma_f32 v29, -v32, v34, v38
	v_div_fixup_f32 v13, v21, v8, v13
	v_div_scale_f32 v21, null, v23, v23, v27
	v_fmac_f32_e32 v37, v36, v37
	v_div_scale_f32 v17, s1, v16, v28, v16
	v_fma_f32 v24, -v33, v26, 1.0
	v_rcp_f32_e32 v31, v21
	v_mul_f32_e32 v1, v14, v1
	v_fmac_f32_e32 v34, v29, v35
	v_mul_f32_e32 v20, v17, v37
	v_fmac_f32_e32 v26, v24, v26
	v_div_scale_f32 v24, null, v28, v28, v12
	v_div_scale_f32 v40, null, v8, v8, v1
	v_div_scale_f32 v29, s2, v22, v8, v22
	v_rcp_f32_e32 v39, v24
	v_fma_f32 v36, -v21, v31, 1.0
	v_fma_f32 v11, -v32, v34, v38
	v_fma_f32 v32, -v30, v20, v17
	v_div_scale_f32 v14, s3, v27, v23, v27
	v_fmac_f32_e32 v31, v36, v31
	v_mul_f32_e32 v38, v29, v26
	v_fmac_f32_e32 v20, v32, v37
	s_mov_b32 vcc_lo, s0
	v_fma_f32 v36, -v24, v39, 1.0
	v_mul_f32_e32 v41, v14, v31
	v_fma_f32 v32, -v33, v38, v29
	v_div_scale_f32 v42, s8, v12, v28, v12
	v_fmac_f32_e32 v39, v36, v39
	v_rcp_f32_e32 v36, v40
	v_div_fmas_f32 v11, v11, v35, v34
	v_fma_f32 v17, -v30, v20, v17
	v_fma_f32 v30, -v21, v41, v14
	v_fmac_f32_e32 v38, v32, v26
	v_mul_f32_e32 v32, v42, v39
	s_mov_b32 vcc_lo, s1
	s_waitcnt lgkmcnt(0)
	v_add_f32_e32 v10, v19, v10
	v_fmac_f32_e32 v41, v30, v31
	v_div_scale_f32 v30, s0, v1, v8, v1
	v_fma_f32 v34, -v40, v36, 1.0
	v_div_fmas_f32 v17, v17, v37, v20
	v_fma_f32 v20, -v33, v38, v29
	v_fma_f32 v29, -v24, v32, v42
	;; [unrolled: 1-line block ×3, first 2 shown]
	v_fmac_f32_e32 v36, v34, v36
	s_mov_b32 vcc_lo, s2
	v_div_fixup_f32 v11, v11, v8, v25
	v_div_fmas_f32 v20, v20, v26, v38
	v_fmac_f32_e32 v32, v29, v39
	v_mul_f32_e32 v21, v30, v36
	s_mov_b32 vcc_lo, s3
	v_add_f32_e32 v9, v18, v9
	v_div_fmas_f32 v14, v14, v31, v41
	v_fma_f32 v19, -v24, v32, v42
	v_fma_f32 v26, -v40, v21, v30
	s_mov_b32 vcc_lo, s8
	v_div_fixup_f32 v16, v17, v28, v16
	v_div_fixup_f32 v14, v14, v23, v27
	v_div_fmas_f32 v19, v19, v39, v32
	v_fmac_f32_e32 v21, v26, v36
	s_mov_b32 vcc_lo, s0
	v_add_f32_e32 v9, v9, v16
	v_add_f32_e32 v10, v10, v14
	v_div_fixup_f32 v12, v19, v28, v12
	v_fma_f32 v17, -v40, v21, v30
	v_add_f32_e32 v14, v15, v11
	v_div_fixup_f32 v11, v20, v8, v22
	v_add_f32_e32 v4, v4, v13
	v_add_f32_e32 v10, v12, v10
	v_div_fmas_f32 v17, v17, v36, v21
	v_cmp_lt_f32_e32 vcc_lo, v3, v5
	v_add_f32_e32 v15, v11, v9
	v_div_fixup_f32 v1, v17, v8, v1
	v_cndmask_b32_e32 v3, v3, v5, vcc_lo
	v_mov_b32_e32 v17, v14
	v_mov_b32_e32 v18, v15
	v_add_f32_e32 v19, v1, v10
	v_mov_b32_e32 v1, v8
.LBB17_49:
	s_or_b32 exec_lo, exec_lo, s19
	s_waitcnt lgkmcnt(5)
	v_or_b32_e32 v13, 16, v7
	v_add_nc_u32_e32 v6, 4, v6
	s_mov_b32 s8, exec_lo
	s_waitcnt lgkmcnt(0)
	ds_bpermute_b32 v10, v13, v8
	ds_bpermute_b32 v11, v13, v2
	;; [unrolled: 1-line block ×7, first 2 shown]
	v_cmpx_gt_u32_e64 s9, v6
	s_cbranch_execz .LBB17_51
; %bb.50:
	s_waitcnt lgkmcnt(3)
	v_sub_f32_e32 v6, v12, v4
	v_add_f32_e32 v12, v1, v10
	v_cmp_gt_f32_e32 vcc_lo, v2, v11
	v_mul_f32_e32 v15, v17, v10
	v_mul_f32_e32 v16, v1, v1
	;; [unrolled: 1-line block ×4, first 2 shown]
	v_cndmask_b32_e32 v2, v2, v11, vcc_lo
	v_sub_f32_e32 v11, v1, v10
	v_mul_f32_e32 v23, v12, v12
	v_div_scale_f32 v20, null, v12, v12, v13
	v_mul_f32_e32 v21, v1, v14
	v_mul_f32_e32 v24, v6, v14
	v_div_scale_f32 v32, vcc_lo, v13, v12, v13
	v_rcp_f32_e32 v25, v20
	v_mul_f32_e32 v21, v21, v10
	v_mul_f32_e32 v27, v1, v24
	v_mul_f32_e32 v26, 0x40400000, v6
	s_waitcnt lgkmcnt(2)
	v_fma_f32 v15, v1, v7, -v15
	v_mul_f32_e32 v24, v6, v24
	v_div_scale_f32 v28, null, v12, v12, v21
	v_mul_f32_e32 v27, v27, v10
	v_fma_f32 v29, -v1, v10, v16
	v_fma_f32 v30, -v20, v25, 1.0
	v_rcp_f32_e32 v31, v28
	v_mul_f32_e32 v15, v26, v15
	v_mul_f32_e32 v11, v11, v27
	;; [unrolled: 1-line block ×3, first 2 shown]
	v_fmac_f32_e32 v25, v30, v25
	v_div_scale_f32 v35, s0, v21, v12, v21
	v_div_scale_f32 v30, null, v23, v23, v11
	v_mul_f32_e32 v33, v32, v25
	v_fma_f32 v34, -v28, v31, 1.0
	v_fmac_f32_e32 v29, v10, v10
	v_rcp_f32_e32 v36, v30
	v_mul_f32_e32 v24, v24, v10
	v_fma_f32 v37, -v20, v33, v32
	v_fmac_f32_e32 v31, v34, v31
	v_div_scale_f32 v34, null, v12, v12, v15
	v_mul_f32_e32 v22, v10, v10
	v_fmac_f32_e32 v33, v37, v25
	v_mul_f32_e32 v16, v16, v7
	v_mul_f32_e32 v27, v12, v23
	;; [unrolled: 1-line block ×4, first 2 shown]
	v_fma_f32 v20, -v20, v33, v32
	v_fma_f32 v32, -v30, v36, 1.0
	v_mul_f32_e32 v14, 0x40c00000, v14
	v_fma_f32 v37, -v28, v26, v35
	v_fmac_f32_e32 v16, v17, v22
	v_div_fmas_f32 v20, v20, v25, v33
	v_rcp_f32_e32 v25, v34
	v_mul_f32_e32 v10, v18, v10
	v_fmac_f32_e32 v36, v32, v36
	v_fmac_f32_e32 v26, v37, v31
	v_div_fixup_f32 v13, v20, v12, v13
	v_div_scale_f32 v20, null, v27, v27, v24
	v_mul_f32_e32 v14, v14, v16
	v_mul_f32_e32 v6, 4.0, v6
	s_waitcnt lgkmcnt(1)
	v_fma_f32 v1, v1, v9, -v10
	v_fma_f32 v29, -v34, v25, 1.0
	v_rcp_f32_e32 v32, v20
	v_div_scale_f32 v22, s1, v11, v23, v11
	v_fma_f32 v16, -v28, v26, v35
	v_fmac_f32_e32 v25, v29, v25
	v_div_scale_f32 v29, null, v23, v23, v14
	v_mul_f32_e32 v1, v6, v1
	s_mov_b32 vcc_lo, s0
	v_mul_f32_e32 v28, v22, v36
	v_div_scale_f32 v33, s2, v15, v12, v15
	v_fma_f32 v35, -v20, v32, 1.0
	v_rcp_f32_e32 v10, v29
	v_div_fmas_f32 v16, v16, v31, v26
	v_div_scale_f32 v31, null, v12, v12, v1
	v_fma_f32 v6, -v30, v28, v22
	v_mul_f32_e32 v26, v33, v25
	v_fmac_f32_e32 v32, v35, v32
	v_div_scale_f32 v35, s0, v24, v27, v24
	v_rcp_f32_e32 v38, v31
	v_fma_f32 v37, -v29, v10, 1.0
	v_fmac_f32_e32 v28, v6, v36
	v_fma_f32 v6, -v34, v26, v33
	v_mul_f32_e32 v39, v35, v32
	v_add_f32_e32 v9, v18, v9
	v_fmac_f32_e32 v10, v37, v10
	v_div_scale_f32 v37, s3, v14, v23, v14
	v_fma_f32 v18, -v30, v28, v22
	v_fmac_f32_e32 v26, v6, v25
	v_fma_f32 v6, -v20, v39, v35
	v_fma_f32 v30, -v31, v38, 1.0
	s_mov_b32 vcc_lo, s1
	v_mul_f32_e32 v22, v37, v10
	v_div_fmas_f32 v18, v18, v36, v28
	v_fma_f32 v28, -v34, v26, v33
	v_fmac_f32_e32 v39, v6, v32
	v_fmac_f32_e32 v38, v30, v38
	v_div_scale_f32 v30, s1, v1, v12, v1
	s_mov_b32 vcc_lo, s2
	v_fma_f32 v6, -v29, v22, v37
	v_div_fmas_f32 v25, v28, v25, v26
	v_fma_f32 v20, -v20, v39, v35
	v_mul_f32_e32 v26, v30, v38
	s_mov_b32 vcc_lo, s0
	v_fmac_f32_e32 v22, v6, v10
	v_div_fixup_f32 v11, v18, v23, v11
	v_div_fmas_f32 v6, v20, v32, v39
	v_fma_f32 v20, -v31, v26, v30
	s_mov_b32 vcc_lo, s3
	v_fma_f32 v18, -v29, v22, v37
	s_waitcnt lgkmcnt(0)
	v_add_f32_e32 v8, v19, v8
	v_div_fixup_f32 v6, v6, v27, v24
	v_fmac_f32_e32 v26, v20, v38
	v_add_f32_e32 v9, v9, v11
	v_div_fmas_f32 v10, v18, v10, v22
	v_div_fixup_f32 v11, v25, v12, v15
	s_mov_b32 vcc_lo, s1
	v_fma_f32 v15, -v31, v26, v30
	v_add_f32_e32 v6, v8, v6
	v_div_fixup_f32 v8, v10, v23, v14
	v_add_f32_e32 v7, v17, v7
	v_div_fixup_f32 v14, v16, v12, v21
	v_div_fmas_f32 v10, v15, v38, v26
	v_cmp_lt_f32_e32 vcc_lo, v3, v5
	v_add_f32_e32 v6, v8, v6
	v_add_f32_e32 v18, v11, v9
	v_add_f32_e32 v17, v7, v14
	v_div_fixup_f32 v1, v10, v12, v1
	v_cndmask_b32_e32 v3, v3, v5, vcc_lo
	v_add_f32_e32 v4, v4, v13
	v_add_f32_e32 v19, v1, v6
	v_mov_b32_e32 v1, v12
.LBB17_51:
	s_or_b32 exec_lo, exec_lo, s8
.LBB17_52:
	s_or_b32 exec_lo, exec_lo, s10
.LBB17_53:
	s_mov_b32 s19, 0
                                        ; implicit-def: $vgpr14
                                        ; implicit-def: $vgpr8
	s_mov_b32 s0, exec_lo
	v_cmpx_eq_u32_e32 0, v0
	s_xor_b32 s9, exec_lo, s0
	s_cbranch_execz .LBB17_57
; %bb.54:
	v_mov_b32_e32 v14, s18
	v_mov_b32_e32 v13, s17
	s_waitcnt lgkmcnt(3)
	v_mov_b32_e32 v12, s16
	s_waitcnt lgkmcnt(0)
	v_mov_b32_e32 v8, s15
	v_mov_b32_e32 v7, s14
	;; [unrolled: 1-line block ×4, first 2 shown]
	s_cmp_eq_u64 s[22:23], 0
	s_cbranch_scc1 .LBB17_56
; %bb.55:
	v_subrev_f32_e32 v4, s15, v4
	v_cmp_gt_f32_e32 vcc_lo, s13, v2
	v_add_f32_e32 v5, s12, v1
	v_mul_f32_e32 v8, s16, v1
	v_mul_f32_e64 v11, s12, s12
	v_mul_f32_e32 v9, v4, v4
	v_cndmask_b32_e32 v6, s13, v2, vcc_lo
	v_mul_f32_e32 v2, v4, v1
	v_mul_f32_e32 v20, 0x40400000, v4
	v_fma_f32 v8, s12, v17, -v8
	v_mul_f32_e32 v13, s12, v9
	v_mul_f32_e32 v14, v4, v9
	v_div_scale_f32 v10, null, v5, v5, v2
	v_div_scale_f32 v25, vcc_lo, v2, v5, v2
	v_mul_f32_e32 v13, v1, v13
	v_rcp_f32_e32 v15, v10
	v_mul_f32_e32 v21, s12, v14
	v_mul_f32_e32 v8, v20, v8
	v_mul_f32_e32 v14, v4, v14
	v_div_scale_f32 v23, null, v5, v5, v13
	v_sub_f32_e32 v7, s12, v1
	v_mul_f32_e32 v12, v1, v1
	v_fma_f32 v22, -s12, v1, v11
	v_rcp_f32_e32 v26, v23
	v_fma_f32 v24, -v10, v15, 1.0
	v_mul_f32_e32 v21, v1, v21
	v_mul_f32_e32 v14, s12, v14
	;; [unrolled: 1-line block ×3, first 2 shown]
	v_fmac_f32_e32 v22, v1, v1
	v_fmac_f32_e32 v15, v24, v15
	v_mul_f32_e32 v7, v7, v21
	v_mul_f32_e32 v14, v1, v14
	;; [unrolled: 1-line block ×3, first 2 shown]
	v_fma_f32 v27, -v23, v26, 1.0
	v_mul_f32_e32 v24, v25, v15
	v_mul_f32_e32 v21, v5, v16
	v_div_scale_f32 v20, null, v16, v16, v7
	v_fmac_f32_e32 v26, v27, v26
	v_fma_f32 v29, -v10, v24, v25
	v_div_scale_f32 v27, null, v5, v5, v8
	v_mul_f32_e32 v14, v22, v14
	v_mul_f32_e32 v9, 0x40c00000, v9
	v_fmac_f32_e32 v24, v29, v15
	v_fmac_f32_e32 v12, v11, v17
	v_rcp_f32_e32 v28, v20
	v_div_scale_f32 v30, s0, v13, v5, v13
	v_fma_f32 v10, -v10, v24, v25
	v_rcp_f32_e32 v25, v27
	v_mul_f32_e32 v9, v9, v12
	v_mul_f32_e32 v1, s17, v1
	;; [unrolled: 1-line block ×3, first 2 shown]
	v_div_fmas_f32 v10, v10, v15, v24
	v_div_scale_f32 v15, null, v21, v21, v14
	v_fma_f32 v31, -v20, v28, 1.0
	v_mul_f32_e32 v4, 4.0, v4
	v_fma_f32 v1, s12, v18, -v1
	v_fma_f32 v11, -v27, v25, 1.0
	v_rcp_f32_e32 v24, v15
	v_fma_f32 v22, -v23, v29, v30
	v_fmac_f32_e32 v28, v31, v28
	v_div_fixup_f32 v2, v10, v5, v2
	v_fmac_f32_e32 v25, v11, v25
	v_div_scale_f32 v11, null, v16, v16, v9
	v_div_scale_f32 v10, s1, v7, v16, v7
	v_mul_f32_e32 v1, v4, v1
	v_rcp_f32_e32 v32, v11
	v_fma_f32 v31, -v15, v24, 1.0
	v_fmac_f32_e32 v29, v22, v26
	v_mul_f32_e32 v12, v10, v28
	v_div_scale_f32 v22, s2, v8, v5, v8
	v_fmac_f32_e32 v24, v31, v24
	v_div_scale_f32 v34, null, v5, v5, v1
	v_fma_f32 v23, -v23, v29, v30
	v_fma_f32 v31, -v11, v32, 1.0
	v_fma_f32 v30, -v20, v12, v10
	v_mul_f32_e32 v33, v22, v25
	v_div_scale_f32 v4, s3, v14, v21, v14
	v_fmac_f32_e32 v32, v31, v32
	v_rcp_f32_e32 v31, v34
	v_fmac_f32_e32 v12, v30, v28
	v_fma_f32 v30, -v27, v33, v22
	v_mul_f32_e32 v35, v4, v24
	s_mov_b32 vcc_lo, s0
	v_div_scale_f32 v36, s8, v9, v16, v9
	v_div_fmas_f32 v23, v23, v26, v29
	v_fma_f32 v10, -v20, v12, v10
	v_fmac_f32_e32 v33, v30, v25
	v_fma_f32 v20, -v15, v35, v4
	v_fma_f32 v29, -v34, v31, 1.0
	s_mov_b32 vcc_lo, s1
	v_mul_f32_e32 v26, v36, v32
	v_div_fmas_f32 v10, v10, v28, v12
	v_fma_f32 v12, -v27, v33, v22
	v_fmac_f32_e32 v35, v20, v24
	v_fmac_f32_e32 v31, v29, v31
	v_div_scale_f32 v22, s0, v1, v5, v1
	v_fma_f32 v20, -v11, v26, v36
	v_fma_f32 v4, -v15, v35, v4
	s_mov_b32 vcc_lo, s2
	v_mul_f32_e32 v15, v22, v31
	v_div_fmas_f32 v12, v12, v25, v33
	v_fmac_f32_e32 v26, v20, v32
	s_mov_b32 vcc_lo, s3
	v_add_f32_e32 v19, s18, v19
	v_fma_f32 v20, -v34, v15, v22
	v_div_fmas_f32 v4, v4, v24, v35
	v_fma_f32 v11, -v11, v26, v36
	s_mov_b32 vcc_lo, s8
	v_div_fixup_f32 v7, v10, v16, v7
	v_fmac_f32_e32 v15, v20, v31
	v_div_fixup_f32 v4, v4, v21, v14
	v_div_fmas_f32 v11, v11, v32, v26
	s_mov_b32 vcc_lo, s0
	v_add_f32_e32 v14, s17, v18
	v_fma_f32 v10, -v34, v15, v22
	v_add_f32_e32 v4, v19, v4
	v_div_fixup_f32 v9, v11, v16, v9
	v_add_f32_e32 v17, s16, v17
	v_div_fixup_f32 v11, v23, v5, v13
	v_div_fmas_f32 v10, v10, v31, v15
	v_add_f32_e32 v13, v14, v7
	v_div_fixup_f32 v14, v12, v5, v8
	v_add_f32_e32 v4, v9, v4
	v_cmp_lt_f32_e32 vcc_lo, s14, v3
	v_div_fixup_f32 v1, v10, v5, v1
	v_add_f32_e32 v8, s15, v2
	v_add_f32_e32 v12, v17, v11
	;; [unrolled: 1-line block ×3, first 2 shown]
	v_cndmask_b32_e32 v7, s14, v3, vcc_lo
	v_add_f32_e32 v14, v1, v4
.LBB17_56:
	s_mov_b32 s19, exec_lo
.LBB17_57:
	s_or_b32 exec_lo, exec_lo, s9
	s_and_b32 vcc_lo, exec_lo, s11
	s_cbranch_vccnz .LBB17_12
.LBB17_58:
	s_branch .LBB17_98
.LBB17_59:
                                        ; implicit-def: $vgpr1
                                        ; implicit-def: $vgpr9
	s_cbranch_execz .LBB17_85
; %bb.60:
	s_sub_i32 s24, s22, s24
	s_mov_b32 s0, exec_lo
                                        ; implicit-def: $vgpr11
                                        ; implicit-def: $vgpr4
	v_cmpx_gt_u32_e64 s24, v0
	s_cbranch_execz .LBB17_62
; %bb.61:
	s_waitcnt lgkmcnt(4)
	v_mad_u64_u32 v[5:6], null, v0, 28, s[10:11]
	global_load_dwordx4 v[1:4], v[5:6], off
	s_waitcnt lgkmcnt(1)
	global_load_dwordx3 v[9:11], v[5:6], off offset:16
.LBB17_62:
	s_or_b32 exec_lo, exec_lo, s0
	s_waitcnt lgkmcnt(4)
	v_or_b32_e32 v5, 0x100, v0
	s_mov_b32 s25, exec_lo
	v_cmpx_gt_u32_e64 s24, v5
	s_cbranch_execz .LBB17_64
; %bb.63:
	s_waitcnt lgkmcnt(3)
	v_mad_u64_u32 v[12:13], null, v5, 28, s[10:11]
	s_waitcnt vmcnt(1)
	v_mul_f32_e32 v15, v1, v1
	s_waitcnt lgkmcnt(0)
	s_clause 0x1
	global_load_dwordx4 v[5:8], v[12:13], off
	global_load_dwordx3 v[12:14], v[12:13], off offset:16
	s_waitcnt vmcnt(1)
	v_sub_f32_e32 v8, v8, v4
	v_cmp_lt_f32_e32 vcc_lo, v6, v2
	v_mul_f32_e32 v20, v9, v5
	v_mul_f32_e32 v16, v5, v5
	s_waitcnt vmcnt(0)
	v_add_f32_e32 v18, v10, v13
	v_add_f32_e32 v11, v11, v14
	v_cndmask_b32_e32 v2, v2, v6, vcc_lo
	v_add_f32_e32 v6, v9, v12
	v_fma_f32 v14, -v1, v5, v15
	v_mul_f32_e32 v15, v15, v12
	v_mul_f32_e32 v10, v10, v5
	;; [unrolled: 1-line block ×4, first 2 shown]
	v_fma_f32 v12, v1, v12, -v20
	v_add_f32_e32 v17, v1, v5
	v_mul_f32_e32 v23, v5, v8
	v_fmac_f32_e32 v15, v9, v16
	v_mul_f32_e32 v9, 4.0, v8
	v_fma_f32 v10, v1, v13, -v10
	v_mul_f32_e32 v16, v8, v22
	v_mul_f32_e32 v26, v1, v22
	;; [unrolled: 1-line block ×3, first 2 shown]
	v_div_scale_f32 v20, null, v17, v17, v23
	v_mul_f32_e32 v22, 0x40c00000, v22
	v_mul_f32_e32 v9, v9, v10
	;; [unrolled: 1-line block ×5, first 2 shown]
	v_div_scale_f32 v26, null, v17, v17, v12
	v_sub_f32_e32 v19, v1, v5
	v_mul_f32_e32 v21, v17, v17
	v_rcp_f32_e32 v10, v20
	v_mul_f32_e32 v15, v22, v15
	v_div_scale_f32 v22, null, v17, v17, v9
	v_mul_f32_e32 v16, v5, v16
	v_rcp_f32_e32 v31, v26
	v_mul_f32_e32 v1, v1, v8
	v_fmac_f32_e32 v14, v5, v5
	v_div_scale_f32 v29, null, v17, v17, v24
	v_div_scale_f32 v8, null, v21, v21, v15
	v_rcp_f32_e32 v33, v22
	v_mul_f32_e32 v16, v19, v16
	v_mul_f32_e32 v1, v5, v1
	;; [unrolled: 1-line block ×3, first 2 shown]
	v_fma_f32 v34, -v20, v10, 1.0
	v_rcp_f32_e32 v35, v29
	v_rcp_f32_e32 v5, v8
	v_div_scale_f32 v19, null, v21, v21, v16
	v_fma_f32 v36, -v26, v31, 1.0
	v_mul_f32_e32 v1, v14, v1
	v_div_scale_f32 v25, vcc_lo, v23, v17, v23
	v_fmac_f32_e32 v10, v34, v10
	v_fma_f32 v14, -v22, v33, 1.0
	v_rcp_f32_e32 v39, v19
	v_fmac_f32_e32 v31, v36, v31
	v_div_scale_f32 v36, null, v13, v13, v1
	v_div_scale_f32 v28, s1, v9, v17, v9
	v_mul_f32_e32 v37, v25, v10
	v_fma_f32 v38, -v29, v35, 1.0
	v_fma_f32 v41, -v8, v5, 1.0
	v_fmac_f32_e32 v33, v14, v33
	v_rcp_f32_e32 v42, v36
	v_div_scale_f32 v30, s2, v24, v17, v24
	v_fma_f32 v14, -v20, v37, v25
	v_fmac_f32_e32 v35, v38, v35
	v_fmac_f32_e32 v5, v41, v5
	v_mul_f32_e32 v41, v28, v33
	v_fma_f32 v43, -v19, v39, 1.0
	v_div_scale_f32 v27, s0, v12, v17, v12
	v_div_scale_f32 v34, s8, v16, v21, v16
	v_fmac_f32_e32 v37, v14, v10
	v_mul_f32_e32 v14, v30, v35
	v_fma_f32 v46, -v22, v41, v28
	v_fmac_f32_e32 v39, v43, v39
	v_fma_f32 v43, -v36, v42, 1.0
	v_mul_f32_e32 v38, v27, v31
	v_div_scale_f32 v40, s9, v1, v13, v1
	v_fma_f32 v20, -v20, v37, v25
	v_fma_f32 v25, -v29, v14, v30
	v_fmac_f32_e32 v41, v46, v33
	v_mul_f32_e32 v46, v34, v39
	v_fmac_f32_e32 v42, v43, v42
	v_fma_f32 v44, -v26, v38, v27
	v_div_scale_f32 v32, s3, v15, v21, v15
	v_div_fmas_f32 v10, v20, v10, v37
	v_fmac_f32_e32 v14, v25, v35
	v_fma_f32 v20, -v19, v46, v34
	v_mul_f32_e32 v25, v40, v42
	v_fmac_f32_e32 v38, v44, v31
	v_mul_f32_e32 v45, v32, v5
	s_mov_b32 vcc_lo, s2
	v_fmac_f32_e32 v46, v20, v39
	v_fma_f32 v20, -v36, v25, v40
	v_fma_f32 v26, -v26, v38, v27
	;; [unrolled: 1-line block ×5, first 2 shown]
	v_fmac_f32_e32 v25, v20, v42
	v_fma_f32 v22, -v22, v41, v28
	v_div_fmas_f32 v14, v27, v35, v14
	s_mov_b32 vcc_lo, s8
	v_fmac_f32_e32 v45, v44, v5
	v_div_fmas_f32 v19, v19, v39, v46
	v_fma_f32 v20, -v36, v25, v40
	s_mov_b32 vcc_lo, s0
	v_div_fixup_f32 v14, v14, v17, v24
	v_div_fmas_f32 v24, v26, v31, v38
	s_mov_b32 vcc_lo, s9
	v_fma_f32 v8, -v8, v45, v32
	v_div_fixup_f32 v16, v19, v21, v16
	v_div_fmas_f32 v19, v20, v42, v25
	s_mov_b32 vcc_lo, s3
	v_div_fixup_f32 v12, v24, v17, v12
	v_div_fmas_f32 v5, v8, v5, v45
	s_mov_b32 vcc_lo, s1
	v_div_fixup_f32 v1, v19, v13, v1
	v_div_fmas_f32 v8, v22, v33, v41
	v_add_f32_e32 v13, v18, v16
	v_div_fixup_f32 v5, v5, v21, v15
	v_div_fixup_f32 v10, v10, v17, v23
	v_add_f32_e32 v1, v11, v1
	v_add_f32_e32 v6, v6, v14
	v_div_fixup_f32 v8, v8, v17, v9
	v_add_f32_e32 v11, v12, v13
	v_cmp_lt_f32_e32 vcc_lo, v3, v7
	v_add_f32_e32 v1, v5, v1
	v_add_f32_e32 v4, v4, v10
	v_mov_b32_e32 v9, v6
	v_mov_b32_e32 v10, v11
	v_cndmask_b32_e32 v3, v3, v7, vcc_lo
	v_add_f32_e32 v11, v8, v1
	v_mov_b32_e32 v1, v17
.LBB17_64:
	s_or_b32 exec_lo, exec_lo, s25
	v_mbcnt_lo_u32_b32 v5, -1, 0
	s_min_u32 s8, s24, 0x100
	s_mov_b32 s0, exec_lo
	v_cmp_ne_u32_e32 vcc_lo, 31, v5
	v_add_nc_u32_e32 v17, 1, v5
	v_add_co_ci_u32_e64 v6, null, 0, v5, vcc_lo
	v_lshlrev_b32_e32 v6, 2, v6
	s_waitcnt vmcnt(1)
	ds_bpermute_b32 v13, v6, v1
	ds_bpermute_b32 v15, v6, v2
	s_waitcnt lgkmcnt(4)
	ds_bpermute_b32 v7, v6, v3
	ds_bpermute_b32 v16, v6, v4
	s_waitcnt vmcnt(0) lgkmcnt(5)
	ds_bpermute_b32 v14, v6, v9
	ds_bpermute_b32 v12, v6, v10
	s_waitcnt lgkmcnt(6)
	ds_bpermute_b32 v8, v6, v11
	v_and_b32_e32 v6, 0xe0, v0
	v_sub_nc_u32_e64 v6, s8, v6 clamp
	v_cmpx_lt_u32_e64 v17, v6
	s_xor_b32 s9, exec_lo, s0
	s_cbranch_execz .LBB17_66
; %bb.65:
	s_waitcnt lgkmcnt(3)
	v_sub_f32_e32 v16, v16, v4
	v_add_f32_e32 v17, v1, v13
	v_cmp_gt_f32_e32 vcc_lo, v2, v15
	v_sub_f32_e32 v20, v1, v13
	v_mul_f32_e32 v21, v9, v13
	v_mul_f32_e32 v18, v16, v13
	;; [unrolled: 1-line block ×3, first 2 shown]
	v_cndmask_b32_e32 v2, v2, v15, vcc_lo
	v_mul_f32_e32 v24, v1, v1
	v_mul_f32_e32 v28, 0x40400000, v16
	v_div_scale_f32 v22, null, v17, v17, v18
	v_mul_f32_e32 v23, v1, v19
	v_mul_f32_e32 v26, v16, v19
	v_div_scale_f32 v35, vcc_lo, v18, v17, v18
	v_rcp_f32_e32 v27, v22
	v_mul_f32_e32 v23, v23, v13
	v_mul_f32_e32 v29, v1, v26
	v_mul_f32_e32 v26, v16, v26
	s_waitcnt lgkmcnt(2)
	v_fma_f32 v21, v1, v14, -v21
	v_fma_f32 v31, -v1, v13, v24
	v_div_scale_f32 v30, null, v17, v17, v23
	v_mul_f32_e32 v29, v29, v13
	v_mul_f32_e32 v26, v1, v26
	v_fma_f32 v33, -v22, v27, 1.0
	v_rcp_f32_e32 v34, v30
	v_mul_f32_e32 v25, v17, v17
	v_mul_f32_e32 v20, v20, v29
	;; [unrolled: 1-line block ×3, first 2 shown]
	v_fmac_f32_e32 v27, v33, v27
	v_fmac_f32_e32 v31, v13, v13
	v_mul_f32_e32 v26, v26, v13
	v_mul_f32_e32 v32, v17, v25
	v_div_scale_f32 v28, null, v25, v25, v20
	v_mul_f32_e32 v29, v35, v27
	v_fma_f32 v33, -v30, v34, 1.0
	v_mul_f32_e32 v26, v31, v26
	v_add_f32_e32 v15, v9, v14
	v_div_scale_f32 v36, s0, v23, v17, v23
	v_fma_f32 v38, -v22, v29, v35
	v_fmac_f32_e32 v34, v33, v34
	v_div_scale_f32 v33, null, v17, v17, v21
	v_rcp_f32_e32 v37, v28
	v_fmac_f32_e32 v29, v38, v27
	v_mul_f32_e32 v14, v24, v14
	v_rcp_f32_e32 v39, v33
	v_div_scale_f32 v24, null, v32, v32, v26
	v_fma_f32 v22, -v22, v29, v35
	v_mul_f32_e32 v38, v36, v34
	v_mul_f32_e32 v19, 0x40c00000, v19
	v_mul_f32_e32 v16, 4.0, v16
	v_fma_f32 v40, -v28, v37, 1.0
	v_div_fmas_f32 v22, v22, v27, v29
	v_mul_f32_e32 v27, v13, v13
	v_rcp_f32_e32 v29, v24
	v_mul_f32_e32 v13, v10, v13
	v_fma_f32 v35, -v30, v38, v36
	v_fmac_f32_e32 v37, v40, v37
	v_fmac_f32_e32 v14, v9, v27
	v_fma_f32 v27, -v33, v39, 1.0
	s_waitcnt lgkmcnt(1)
	v_fma_f32 v1, v1, v12, -v13
	v_fmac_f32_e32 v38, v35, v34
	v_div_scale_f32 v9, s1, v20, v25, v20
	v_mul_f32_e32 v14, v19, v14
	v_fmac_f32_e32 v39, v27, v39
	v_fma_f32 v35, -v24, v29, 1.0
	v_mul_f32_e32 v1, v16, v1
	v_fma_f32 v19, -v30, v38, v36
	v_div_scale_f32 v27, null, v25, v25, v14
	v_mul_f32_e32 v30, v9, v37
	v_fmac_f32_e32 v29, v35, v29
	v_div_scale_f32 v35, null, v17, v17, v1
	v_rcp_f32_e32 v13, v27
	v_div_scale_f32 v31, s2, v21, v17, v21
	s_mov_b32 vcc_lo, s0
	v_fma_f32 v16, -v28, v30, v9
	v_div_scale_f32 v36, s0, v26, v32, v26
	v_rcp_f32_e32 v40, v35
	v_div_fmas_f32 v19, v19, v34, v38
	v_mul_f32_e32 v34, v31, v39
	v_fma_f32 v38, -v27, v13, 1.0
	v_fmac_f32_e32 v30, v16, v37
	v_mul_f32_e32 v41, v36, v29
	v_add_f32_e32 v10, v10, v12
	v_fma_f32 v16, -v33, v34, v31
	v_fmac_f32_e32 v13, v38, v13
	v_div_scale_f32 v38, s3, v14, v25, v14
	v_fma_f32 v9, -v28, v30, v9
	v_fma_f32 v12, -v24, v41, v36
	v_fma_f32 v28, -v35, v40, 1.0
	v_fmac_f32_e32 v34, v16, v39
	v_mul_f32_e32 v16, v38, v13
	s_mov_b32 vcc_lo, s1
	v_fmac_f32_e32 v41, v12, v29
	v_fmac_f32_e32 v40, v28, v40
	v_div_scale_f32 v28, s1, v1, v17, v1
	v_div_fmas_f32 v9, v9, v37, v30
	v_fma_f32 v30, -v33, v34, v31
	v_fma_f32 v12, -v27, v16, v38
	;; [unrolled: 1-line block ×3, first 2 shown]
	v_mul_f32_e32 v31, v28, v40
	s_mov_b32 vcc_lo, s2
	v_div_fixup_f32 v9, v9, v25, v20
	v_div_fmas_f32 v30, v30, v39, v34
	s_mov_b32 vcc_lo, s0
	v_fmac_f32_e32 v16, v12, v13
	v_div_fmas_f32 v12, v24, v29, v41
	v_fma_f32 v24, -v35, v31, v28
	s_waitcnt lgkmcnt(0)
	v_add_f32_e32 v8, v11, v8
	s_mov_b32 vcc_lo, s3
	v_fma_f32 v11, -v27, v16, v38
	v_div_fixup_f32 v12, v12, v32, v26
	v_fmac_f32_e32 v31, v24, v40
	v_add_f32_e32 v9, v10, v9
	v_div_fmas_f32 v11, v11, v13, v16
	s_mov_b32 vcc_lo, s1
	v_fma_f32 v10, -v35, v31, v28
	v_div_fixup_f32 v13, v19, v17, v23
	v_add_f32_e32 v8, v8, v12
	v_div_fixup_f32 v11, v11, v25, v14
	v_div_fixup_f32 v12, v30, v17, v21
	v_div_fmas_f32 v10, v10, v40, v31
	v_div_fixup_f32 v14, v22, v17, v18
	v_add_f32_e32 v13, v15, v13
	v_add_f32_e32 v8, v11, v8
	v_cmp_lt_f32_e32 vcc_lo, v3, v7
	v_div_fixup_f32 v1, v10, v17, v1
	v_add_f32_e32 v10, v12, v9
	v_add_f32_e32 v4, v4, v14
	v_mov_b32_e32 v9, v13
	v_cndmask_b32_e32 v3, v3, v7, vcc_lo
	v_add_f32_e32 v11, v1, v8
	v_mov_b32_e32 v1, v17
.LBB17_66:
	s_or_b32 exec_lo, exec_lo, s9
	v_cmp_gt_u32_e32 vcc_lo, 30, v5
	v_add_nc_u32_e32 v17, 2, v5
	s_mov_b32 s9, exec_lo
	s_waitcnt lgkmcnt(4)
	v_cndmask_b32_e64 v7, 0, 2, vcc_lo
	s_waitcnt lgkmcnt(0)
	v_add_lshl_u32 v8, v7, v5, 2
	ds_bpermute_b32 v13, v8, v1
	ds_bpermute_b32 v15, v8, v2
	ds_bpermute_b32 v7, v8, v3
	ds_bpermute_b32 v16, v8, v4
	ds_bpermute_b32 v14, v8, v9
	ds_bpermute_b32 v12, v8, v10
	ds_bpermute_b32 v8, v8, v11
	v_cmpx_lt_u32_e64 v17, v6
	s_cbranch_execz .LBB17_68
; %bb.67:
	s_waitcnt lgkmcnt(3)
	v_sub_f32_e32 v16, v16, v4
	v_add_f32_e32 v17, v1, v13
	v_cmp_gt_f32_e32 vcc_lo, v2, v15
	v_sub_f32_e32 v20, v1, v13
	v_mul_f32_e32 v21, v9, v13
	v_mul_f32_e32 v18, v16, v13
	;; [unrolled: 1-line block ×3, first 2 shown]
	v_cndmask_b32_e32 v2, v2, v15, vcc_lo
	v_mul_f32_e32 v24, v1, v1
	v_mul_f32_e32 v28, 0x40400000, v16
	v_div_scale_f32 v22, null, v17, v17, v18
	v_mul_f32_e32 v23, v1, v19
	v_mul_f32_e32 v26, v16, v19
	v_div_scale_f32 v35, vcc_lo, v18, v17, v18
	v_rcp_f32_e32 v27, v22
	v_mul_f32_e32 v23, v23, v13
	v_mul_f32_e32 v29, v1, v26
	;; [unrolled: 1-line block ×3, first 2 shown]
	s_waitcnt lgkmcnt(2)
	v_fma_f32 v21, v1, v14, -v21
	v_fma_f32 v31, -v1, v13, v24
	v_div_scale_f32 v30, null, v17, v17, v23
	v_mul_f32_e32 v29, v29, v13
	v_mul_f32_e32 v26, v1, v26
	v_fma_f32 v33, -v22, v27, 1.0
	v_rcp_f32_e32 v34, v30
	v_mul_f32_e32 v25, v17, v17
	v_mul_f32_e32 v20, v20, v29
	;; [unrolled: 1-line block ×3, first 2 shown]
	v_fmac_f32_e32 v27, v33, v27
	v_fmac_f32_e32 v31, v13, v13
	v_mul_f32_e32 v26, v26, v13
	v_mul_f32_e32 v32, v17, v25
	v_div_scale_f32 v28, null, v25, v25, v20
	v_mul_f32_e32 v29, v35, v27
	v_fma_f32 v33, -v30, v34, 1.0
	v_mul_f32_e32 v26, v31, v26
	v_add_f32_e32 v15, v9, v14
	v_div_scale_f32 v36, s0, v23, v17, v23
	v_fma_f32 v38, -v22, v29, v35
	v_fmac_f32_e32 v34, v33, v34
	v_div_scale_f32 v33, null, v17, v17, v21
	v_rcp_f32_e32 v37, v28
	v_fmac_f32_e32 v29, v38, v27
	v_mul_f32_e32 v14, v24, v14
	v_rcp_f32_e32 v39, v33
	v_div_scale_f32 v24, null, v32, v32, v26
	v_fma_f32 v22, -v22, v29, v35
	v_mul_f32_e32 v38, v36, v34
	v_mul_f32_e32 v19, 0x40c00000, v19
	v_mul_f32_e32 v16, 4.0, v16
	v_fma_f32 v40, -v28, v37, 1.0
	v_div_fmas_f32 v22, v22, v27, v29
	v_mul_f32_e32 v27, v13, v13
	v_rcp_f32_e32 v29, v24
	v_mul_f32_e32 v13, v10, v13
	v_fma_f32 v35, -v30, v38, v36
	v_fmac_f32_e32 v37, v40, v37
	v_fmac_f32_e32 v14, v9, v27
	v_fma_f32 v27, -v33, v39, 1.0
	s_waitcnt lgkmcnt(1)
	v_fma_f32 v1, v1, v12, -v13
	v_fmac_f32_e32 v38, v35, v34
	v_div_scale_f32 v9, s1, v20, v25, v20
	v_mul_f32_e32 v14, v19, v14
	v_fmac_f32_e32 v39, v27, v39
	v_fma_f32 v35, -v24, v29, 1.0
	v_mul_f32_e32 v1, v16, v1
	v_fma_f32 v19, -v30, v38, v36
	v_div_scale_f32 v27, null, v25, v25, v14
	v_mul_f32_e32 v30, v9, v37
	v_fmac_f32_e32 v29, v35, v29
	v_div_scale_f32 v35, null, v17, v17, v1
	v_rcp_f32_e32 v13, v27
	v_div_scale_f32 v31, s2, v21, v17, v21
	s_mov_b32 vcc_lo, s0
	v_fma_f32 v16, -v28, v30, v9
	v_div_scale_f32 v36, s0, v26, v32, v26
	v_rcp_f32_e32 v40, v35
	v_div_fmas_f32 v19, v19, v34, v38
	v_mul_f32_e32 v34, v31, v39
	v_fma_f32 v38, -v27, v13, 1.0
	v_fmac_f32_e32 v30, v16, v37
	v_mul_f32_e32 v41, v36, v29
	v_add_f32_e32 v10, v10, v12
	v_fma_f32 v16, -v33, v34, v31
	v_fmac_f32_e32 v13, v38, v13
	v_div_scale_f32 v38, s3, v14, v25, v14
	v_fma_f32 v9, -v28, v30, v9
	v_fma_f32 v12, -v24, v41, v36
	v_fma_f32 v28, -v35, v40, 1.0
	v_fmac_f32_e32 v34, v16, v39
	v_mul_f32_e32 v16, v38, v13
	s_mov_b32 vcc_lo, s1
	v_fmac_f32_e32 v41, v12, v29
	v_fmac_f32_e32 v40, v28, v40
	v_div_scale_f32 v28, s1, v1, v17, v1
	v_div_fmas_f32 v9, v9, v37, v30
	v_fma_f32 v30, -v33, v34, v31
	v_fma_f32 v12, -v27, v16, v38
	;; [unrolled: 1-line block ×3, first 2 shown]
	v_mul_f32_e32 v31, v28, v40
	s_mov_b32 vcc_lo, s2
	v_div_fixup_f32 v9, v9, v25, v20
	v_div_fmas_f32 v30, v30, v39, v34
	s_mov_b32 vcc_lo, s0
	v_fmac_f32_e32 v16, v12, v13
	v_div_fmas_f32 v12, v24, v29, v41
	v_fma_f32 v24, -v35, v31, v28
	s_waitcnt lgkmcnt(0)
	v_add_f32_e32 v8, v11, v8
	s_mov_b32 vcc_lo, s3
	v_fma_f32 v11, -v27, v16, v38
	v_div_fixup_f32 v12, v12, v32, v26
	v_fmac_f32_e32 v31, v24, v40
	v_add_f32_e32 v9, v10, v9
	v_div_fmas_f32 v11, v11, v13, v16
	s_mov_b32 vcc_lo, s1
	v_fma_f32 v10, -v35, v31, v28
	v_div_fixup_f32 v13, v19, v17, v23
	v_add_f32_e32 v8, v8, v12
	v_div_fixup_f32 v11, v11, v25, v14
	v_div_fixup_f32 v12, v30, v17, v21
	v_div_fmas_f32 v10, v10, v40, v31
	v_div_fixup_f32 v14, v22, v17, v18
	v_add_f32_e32 v13, v15, v13
	v_add_f32_e32 v8, v11, v8
	v_cmp_lt_f32_e32 vcc_lo, v3, v7
	v_div_fixup_f32 v1, v10, v17, v1
	v_add_f32_e32 v10, v12, v9
	v_add_f32_e32 v4, v4, v14
	v_mov_b32_e32 v9, v13
	v_cndmask_b32_e32 v3, v3, v7, vcc_lo
	v_add_f32_e32 v11, v1, v8
	v_mov_b32_e32 v1, v17
.LBB17_68:
	s_or_b32 exec_lo, exec_lo, s9
	v_cmp_gt_u32_e32 vcc_lo, 28, v5
	v_add_nc_u32_e32 v17, 4, v5
	s_mov_b32 s9, exec_lo
	s_waitcnt lgkmcnt(4)
	v_cndmask_b32_e64 v7, 0, 4, vcc_lo
	s_waitcnt lgkmcnt(0)
	v_add_lshl_u32 v8, v7, v5, 2
	ds_bpermute_b32 v13, v8, v1
	ds_bpermute_b32 v15, v8, v2
	;; [unrolled: 1-line block ×7, first 2 shown]
	v_cmpx_lt_u32_e64 v17, v6
	s_cbranch_execz .LBB17_70
; %bb.69:
	s_waitcnt lgkmcnt(3)
	v_sub_f32_e32 v16, v16, v4
	v_add_f32_e32 v17, v1, v13
	v_cmp_gt_f32_e32 vcc_lo, v2, v15
	v_sub_f32_e32 v20, v1, v13
	v_mul_f32_e32 v21, v9, v13
	v_mul_f32_e32 v18, v16, v13
	;; [unrolled: 1-line block ×3, first 2 shown]
	v_cndmask_b32_e32 v2, v2, v15, vcc_lo
	v_mul_f32_e32 v24, v1, v1
	v_mul_f32_e32 v28, 0x40400000, v16
	v_div_scale_f32 v22, null, v17, v17, v18
	v_mul_f32_e32 v23, v1, v19
	v_mul_f32_e32 v26, v16, v19
	v_div_scale_f32 v35, vcc_lo, v18, v17, v18
	v_rcp_f32_e32 v27, v22
	v_mul_f32_e32 v23, v23, v13
	v_mul_f32_e32 v29, v1, v26
	;; [unrolled: 1-line block ×3, first 2 shown]
	s_waitcnt lgkmcnt(2)
	v_fma_f32 v21, v1, v14, -v21
	v_fma_f32 v31, -v1, v13, v24
	v_div_scale_f32 v30, null, v17, v17, v23
	v_mul_f32_e32 v29, v29, v13
	v_mul_f32_e32 v26, v1, v26
	v_fma_f32 v33, -v22, v27, 1.0
	v_rcp_f32_e32 v34, v30
	v_mul_f32_e32 v25, v17, v17
	v_mul_f32_e32 v20, v20, v29
	;; [unrolled: 1-line block ×3, first 2 shown]
	v_fmac_f32_e32 v27, v33, v27
	v_fmac_f32_e32 v31, v13, v13
	v_mul_f32_e32 v26, v26, v13
	v_mul_f32_e32 v32, v17, v25
	v_div_scale_f32 v28, null, v25, v25, v20
	v_mul_f32_e32 v29, v35, v27
	v_fma_f32 v33, -v30, v34, 1.0
	v_mul_f32_e32 v26, v31, v26
	v_add_f32_e32 v15, v9, v14
	v_div_scale_f32 v36, s0, v23, v17, v23
	v_fma_f32 v38, -v22, v29, v35
	v_fmac_f32_e32 v34, v33, v34
	v_div_scale_f32 v33, null, v17, v17, v21
	v_rcp_f32_e32 v37, v28
	v_fmac_f32_e32 v29, v38, v27
	v_mul_f32_e32 v14, v24, v14
	v_rcp_f32_e32 v39, v33
	v_div_scale_f32 v24, null, v32, v32, v26
	v_fma_f32 v22, -v22, v29, v35
	v_mul_f32_e32 v38, v36, v34
	v_mul_f32_e32 v19, 0x40c00000, v19
	v_mul_f32_e32 v16, 4.0, v16
	v_fma_f32 v40, -v28, v37, 1.0
	v_div_fmas_f32 v22, v22, v27, v29
	v_mul_f32_e32 v27, v13, v13
	v_rcp_f32_e32 v29, v24
	v_mul_f32_e32 v13, v10, v13
	v_fma_f32 v35, -v30, v38, v36
	v_fmac_f32_e32 v37, v40, v37
	v_fmac_f32_e32 v14, v9, v27
	v_fma_f32 v27, -v33, v39, 1.0
	s_waitcnt lgkmcnt(1)
	v_fma_f32 v1, v1, v12, -v13
	v_fmac_f32_e32 v38, v35, v34
	v_div_scale_f32 v9, s1, v20, v25, v20
	v_mul_f32_e32 v14, v19, v14
	v_fmac_f32_e32 v39, v27, v39
	v_fma_f32 v35, -v24, v29, 1.0
	v_mul_f32_e32 v1, v16, v1
	v_fma_f32 v19, -v30, v38, v36
	v_div_scale_f32 v27, null, v25, v25, v14
	v_mul_f32_e32 v30, v9, v37
	v_fmac_f32_e32 v29, v35, v29
	v_div_scale_f32 v35, null, v17, v17, v1
	v_rcp_f32_e32 v13, v27
	v_div_scale_f32 v31, s2, v21, v17, v21
	s_mov_b32 vcc_lo, s0
	v_fma_f32 v16, -v28, v30, v9
	v_div_scale_f32 v36, s0, v26, v32, v26
	v_rcp_f32_e32 v40, v35
	v_div_fmas_f32 v19, v19, v34, v38
	v_mul_f32_e32 v34, v31, v39
	v_fma_f32 v38, -v27, v13, 1.0
	v_fmac_f32_e32 v30, v16, v37
	v_mul_f32_e32 v41, v36, v29
	v_add_f32_e32 v10, v10, v12
	v_fma_f32 v16, -v33, v34, v31
	v_fmac_f32_e32 v13, v38, v13
	v_div_scale_f32 v38, s3, v14, v25, v14
	v_fma_f32 v9, -v28, v30, v9
	v_fma_f32 v12, -v24, v41, v36
	v_fma_f32 v28, -v35, v40, 1.0
	v_fmac_f32_e32 v34, v16, v39
	v_mul_f32_e32 v16, v38, v13
	s_mov_b32 vcc_lo, s1
	v_fmac_f32_e32 v41, v12, v29
	v_fmac_f32_e32 v40, v28, v40
	v_div_scale_f32 v28, s1, v1, v17, v1
	v_div_fmas_f32 v9, v9, v37, v30
	v_fma_f32 v30, -v33, v34, v31
	v_fma_f32 v12, -v27, v16, v38
	;; [unrolled: 1-line block ×3, first 2 shown]
	v_mul_f32_e32 v31, v28, v40
	s_mov_b32 vcc_lo, s2
	v_div_fixup_f32 v9, v9, v25, v20
	v_div_fmas_f32 v30, v30, v39, v34
	s_mov_b32 vcc_lo, s0
	v_fmac_f32_e32 v16, v12, v13
	v_div_fmas_f32 v12, v24, v29, v41
	v_fma_f32 v24, -v35, v31, v28
	s_waitcnt lgkmcnt(0)
	v_add_f32_e32 v8, v11, v8
	s_mov_b32 vcc_lo, s3
	v_fma_f32 v11, -v27, v16, v38
	v_div_fixup_f32 v12, v12, v32, v26
	v_fmac_f32_e32 v31, v24, v40
	v_add_f32_e32 v9, v10, v9
	v_div_fmas_f32 v11, v11, v13, v16
	s_mov_b32 vcc_lo, s1
	v_fma_f32 v10, -v35, v31, v28
	v_div_fixup_f32 v13, v19, v17, v23
	v_add_f32_e32 v8, v8, v12
	v_div_fixup_f32 v11, v11, v25, v14
	v_div_fixup_f32 v12, v30, v17, v21
	v_div_fmas_f32 v10, v10, v40, v31
	v_div_fixup_f32 v14, v22, v17, v18
	v_add_f32_e32 v13, v15, v13
	v_add_f32_e32 v8, v11, v8
	v_cmp_lt_f32_e32 vcc_lo, v3, v7
	v_div_fixup_f32 v1, v10, v17, v1
	v_add_f32_e32 v10, v12, v9
	v_add_f32_e32 v4, v4, v14
	v_mov_b32_e32 v9, v13
	v_cndmask_b32_e32 v3, v3, v7, vcc_lo
	v_add_f32_e32 v11, v1, v8
	v_mov_b32_e32 v1, v17
.LBB17_70:
	s_or_b32 exec_lo, exec_lo, s9
	v_cmp_gt_u32_e32 vcc_lo, 24, v5
	v_add_nc_u32_e32 v17, 8, v5
	s_mov_b32 s9, exec_lo
	s_waitcnt lgkmcnt(4)
	v_cndmask_b32_e64 v7, 0, 8, vcc_lo
	s_waitcnt lgkmcnt(0)
	v_add_lshl_u32 v8, v7, v5, 2
	ds_bpermute_b32 v13, v8, v1
	ds_bpermute_b32 v15, v8, v2
	;; [unrolled: 1-line block ×7, first 2 shown]
	v_cmpx_lt_u32_e64 v17, v6
	s_cbranch_execz .LBB17_72
; %bb.71:
	s_waitcnt lgkmcnt(3)
	v_sub_f32_e32 v16, v16, v4
	v_add_f32_e32 v17, v1, v13
	v_cmp_gt_f32_e32 vcc_lo, v2, v15
	v_sub_f32_e32 v20, v1, v13
	v_mul_f32_e32 v21, v9, v13
	v_mul_f32_e32 v18, v16, v13
	;; [unrolled: 1-line block ×3, first 2 shown]
	v_cndmask_b32_e32 v2, v2, v15, vcc_lo
	v_mul_f32_e32 v24, v1, v1
	v_mul_f32_e32 v28, 0x40400000, v16
	v_div_scale_f32 v22, null, v17, v17, v18
	v_mul_f32_e32 v23, v1, v19
	v_mul_f32_e32 v26, v16, v19
	v_div_scale_f32 v35, vcc_lo, v18, v17, v18
	v_rcp_f32_e32 v27, v22
	v_mul_f32_e32 v23, v23, v13
	v_mul_f32_e32 v29, v1, v26
	;; [unrolled: 1-line block ×3, first 2 shown]
	s_waitcnt lgkmcnt(2)
	v_fma_f32 v21, v1, v14, -v21
	v_fma_f32 v31, -v1, v13, v24
	v_div_scale_f32 v30, null, v17, v17, v23
	v_mul_f32_e32 v29, v29, v13
	v_mul_f32_e32 v26, v1, v26
	v_fma_f32 v33, -v22, v27, 1.0
	v_rcp_f32_e32 v34, v30
	v_mul_f32_e32 v25, v17, v17
	v_mul_f32_e32 v20, v20, v29
	;; [unrolled: 1-line block ×3, first 2 shown]
	v_fmac_f32_e32 v27, v33, v27
	v_fmac_f32_e32 v31, v13, v13
	v_mul_f32_e32 v26, v26, v13
	v_mul_f32_e32 v32, v17, v25
	v_div_scale_f32 v28, null, v25, v25, v20
	v_mul_f32_e32 v29, v35, v27
	v_fma_f32 v33, -v30, v34, 1.0
	v_mul_f32_e32 v26, v31, v26
	v_add_f32_e32 v15, v9, v14
	v_div_scale_f32 v36, s0, v23, v17, v23
	v_fma_f32 v38, -v22, v29, v35
	v_fmac_f32_e32 v34, v33, v34
	v_div_scale_f32 v33, null, v17, v17, v21
	v_rcp_f32_e32 v37, v28
	v_fmac_f32_e32 v29, v38, v27
	v_mul_f32_e32 v14, v24, v14
	v_rcp_f32_e32 v39, v33
	v_div_scale_f32 v24, null, v32, v32, v26
	v_fma_f32 v22, -v22, v29, v35
	v_mul_f32_e32 v38, v36, v34
	v_mul_f32_e32 v19, 0x40c00000, v19
	v_mul_f32_e32 v16, 4.0, v16
	v_fma_f32 v40, -v28, v37, 1.0
	v_div_fmas_f32 v22, v22, v27, v29
	v_mul_f32_e32 v27, v13, v13
	v_rcp_f32_e32 v29, v24
	v_mul_f32_e32 v13, v10, v13
	v_fma_f32 v35, -v30, v38, v36
	v_fmac_f32_e32 v37, v40, v37
	v_fmac_f32_e32 v14, v9, v27
	v_fma_f32 v27, -v33, v39, 1.0
	s_waitcnt lgkmcnt(1)
	v_fma_f32 v1, v1, v12, -v13
	v_fmac_f32_e32 v38, v35, v34
	v_div_scale_f32 v9, s1, v20, v25, v20
	v_mul_f32_e32 v14, v19, v14
	v_fmac_f32_e32 v39, v27, v39
	v_fma_f32 v35, -v24, v29, 1.0
	v_mul_f32_e32 v1, v16, v1
	v_fma_f32 v19, -v30, v38, v36
	v_div_scale_f32 v27, null, v25, v25, v14
	v_mul_f32_e32 v30, v9, v37
	v_fmac_f32_e32 v29, v35, v29
	v_div_scale_f32 v35, null, v17, v17, v1
	v_rcp_f32_e32 v13, v27
	v_div_scale_f32 v31, s2, v21, v17, v21
	s_mov_b32 vcc_lo, s0
	v_fma_f32 v16, -v28, v30, v9
	v_div_scale_f32 v36, s0, v26, v32, v26
	v_rcp_f32_e32 v40, v35
	v_div_fmas_f32 v19, v19, v34, v38
	v_mul_f32_e32 v34, v31, v39
	v_fma_f32 v38, -v27, v13, 1.0
	v_fmac_f32_e32 v30, v16, v37
	v_mul_f32_e32 v41, v36, v29
	v_add_f32_e32 v10, v10, v12
	v_fma_f32 v16, -v33, v34, v31
	v_fmac_f32_e32 v13, v38, v13
	v_div_scale_f32 v38, s3, v14, v25, v14
	v_fma_f32 v9, -v28, v30, v9
	v_fma_f32 v12, -v24, v41, v36
	v_fma_f32 v28, -v35, v40, 1.0
	v_fmac_f32_e32 v34, v16, v39
	v_mul_f32_e32 v16, v38, v13
	s_mov_b32 vcc_lo, s1
	v_fmac_f32_e32 v41, v12, v29
	v_fmac_f32_e32 v40, v28, v40
	v_div_scale_f32 v28, s1, v1, v17, v1
	v_div_fmas_f32 v9, v9, v37, v30
	v_fma_f32 v30, -v33, v34, v31
	v_fma_f32 v12, -v27, v16, v38
	;; [unrolled: 1-line block ×3, first 2 shown]
	v_mul_f32_e32 v31, v28, v40
	s_mov_b32 vcc_lo, s2
	v_div_fixup_f32 v9, v9, v25, v20
	v_div_fmas_f32 v30, v30, v39, v34
	s_mov_b32 vcc_lo, s0
	v_fmac_f32_e32 v16, v12, v13
	v_div_fmas_f32 v12, v24, v29, v41
	v_fma_f32 v24, -v35, v31, v28
	s_waitcnt lgkmcnt(0)
	v_add_f32_e32 v8, v11, v8
	s_mov_b32 vcc_lo, s3
	v_fma_f32 v11, -v27, v16, v38
	v_div_fixup_f32 v12, v12, v32, v26
	v_fmac_f32_e32 v31, v24, v40
	v_add_f32_e32 v9, v10, v9
	v_div_fmas_f32 v11, v11, v13, v16
	s_mov_b32 vcc_lo, s1
	v_fma_f32 v10, -v35, v31, v28
	v_div_fixup_f32 v13, v19, v17, v23
	v_add_f32_e32 v8, v8, v12
	v_div_fixup_f32 v11, v11, v25, v14
	v_div_fixup_f32 v12, v30, v17, v21
	v_div_fmas_f32 v10, v10, v40, v31
	v_div_fixup_f32 v14, v22, v17, v18
	v_add_f32_e32 v13, v15, v13
	v_add_f32_e32 v8, v11, v8
	v_cmp_lt_f32_e32 vcc_lo, v3, v7
	v_div_fixup_f32 v1, v10, v17, v1
	v_add_f32_e32 v10, v12, v9
	v_add_f32_e32 v4, v4, v14
	v_mov_b32_e32 v9, v13
	v_cndmask_b32_e32 v3, v3, v7, vcc_lo
	v_add_f32_e32 v11, v1, v8
	v_mov_b32_e32 v1, v17
.LBB17_72:
	s_or_b32 exec_lo, exec_lo, s9
	s_waitcnt lgkmcnt(4)
	v_lshlrev_b32_e32 v7, 2, v5
	v_add_nc_u32_e32 v18, 16, v5
	s_mov_b32 s9, exec_lo
	s_waitcnt lgkmcnt(1)
	v_or_b32_e32 v12, 64, v7
	ds_bpermute_b32 v14, v12, v1
	ds_bpermute_b32 v16, v12, v2
	s_waitcnt lgkmcnt(2)
	ds_bpermute_b32 v8, v12, v3
	ds_bpermute_b32 v17, v12, v4
	ds_bpermute_b32 v15, v12, v9
	ds_bpermute_b32 v13, v12, v10
	ds_bpermute_b32 v12, v12, v11
	v_cmpx_lt_u32_e64 v18, v6
	s_cbranch_execz .LBB17_74
; %bb.73:
	s_waitcnt lgkmcnt(3)
	v_sub_f32_e32 v6, v17, v4
	v_add_f32_e32 v17, v1, v14
	v_cmp_gt_f32_e32 vcc_lo, v2, v16
	v_sub_f32_e32 v20, v1, v14
	v_mul_f32_e32 v21, v9, v14
	v_mul_f32_e32 v18, v6, v14
	v_mul_f32_e32 v19, v6, v6
	v_cndmask_b32_e32 v2, v2, v16, vcc_lo
	v_mul_f32_e32 v24, v1, v1
	v_mul_f32_e32 v28, 0x40400000, v6
	v_div_scale_f32 v22, null, v17, v17, v18
	v_mul_f32_e32 v23, v1, v19
	v_mul_f32_e32 v26, v6, v19
	v_div_scale_f32 v35, vcc_lo, v18, v17, v18
	v_rcp_f32_e32 v27, v22
	v_mul_f32_e32 v23, v23, v14
	v_mul_f32_e32 v29, v1, v26
	;; [unrolled: 1-line block ×3, first 2 shown]
	s_waitcnt lgkmcnt(2)
	v_fma_f32 v21, v1, v15, -v21
	v_fma_f32 v31, -v1, v14, v24
	v_div_scale_f32 v30, null, v17, v17, v23
	v_mul_f32_e32 v29, v29, v14
	v_mul_f32_e32 v26, v1, v26
	v_fma_f32 v33, -v22, v27, 1.0
	v_rcp_f32_e32 v34, v30
	v_mul_f32_e32 v25, v17, v17
	v_mul_f32_e32 v20, v20, v29
	;; [unrolled: 1-line block ×3, first 2 shown]
	v_fmac_f32_e32 v27, v33, v27
	v_fmac_f32_e32 v31, v14, v14
	v_mul_f32_e32 v26, v26, v14
	v_mul_f32_e32 v32, v17, v25
	v_div_scale_f32 v28, null, v25, v25, v20
	v_mul_f32_e32 v29, v35, v27
	v_fma_f32 v33, -v30, v34, 1.0
	v_mul_f32_e32 v26, v31, v26
	v_add_f32_e32 v16, v9, v15
	v_div_scale_f32 v36, s0, v23, v17, v23
	v_fma_f32 v38, -v22, v29, v35
	v_fmac_f32_e32 v34, v33, v34
	v_div_scale_f32 v33, null, v17, v17, v21
	v_rcp_f32_e32 v37, v28
	v_fmac_f32_e32 v29, v38, v27
	v_mul_f32_e32 v15, v24, v15
	v_rcp_f32_e32 v39, v33
	v_div_scale_f32 v24, null, v32, v32, v26
	v_fma_f32 v22, -v22, v29, v35
	v_mul_f32_e32 v38, v36, v34
	v_mul_f32_e32 v19, 0x40c00000, v19
	v_mul_f32_e32 v6, 4.0, v6
	v_fma_f32 v40, -v28, v37, 1.0
	v_div_fmas_f32 v22, v22, v27, v29
	v_mul_f32_e32 v27, v14, v14
	v_rcp_f32_e32 v29, v24
	v_mul_f32_e32 v14, v10, v14
	v_fma_f32 v35, -v30, v38, v36
	v_fmac_f32_e32 v37, v40, v37
	v_fmac_f32_e32 v15, v9, v27
	v_fma_f32 v27, -v33, v39, 1.0
	s_waitcnt lgkmcnt(1)
	v_fma_f32 v1, v1, v13, -v14
	v_fmac_f32_e32 v38, v35, v34
	v_div_scale_f32 v9, s1, v20, v25, v20
	v_mul_f32_e32 v15, v19, v15
	v_fmac_f32_e32 v39, v27, v39
	v_fma_f32 v35, -v24, v29, 1.0
	v_mul_f32_e32 v1, v6, v1
	v_fma_f32 v19, -v30, v38, v36
	v_div_scale_f32 v27, null, v25, v25, v15
	v_mul_f32_e32 v30, v9, v37
	v_div_scale_f32 v31, s2, v21, v17, v21
	v_rcp_f32_e32 v14, v27
	v_fmac_f32_e32 v29, v35, v29
	v_div_scale_f32 v35, null, v17, v17, v1
	s_mov_b32 vcc_lo, s0
	v_fma_f32 v6, -v28, v30, v9
	v_div_fmas_f32 v19, v19, v34, v38
	v_mul_f32_e32 v34, v31, v39
	v_div_scale_f32 v36, s0, v26, v32, v26
	v_rcp_f32_e32 v40, v35
	v_fma_f32 v38, -v27, v14, 1.0
	v_fmac_f32_e32 v30, v6, v37
	v_fma_f32 v6, -v33, v34, v31
	v_mul_f32_e32 v41, v36, v29
	v_add_f32_e32 v10, v10, v13
	v_fmac_f32_e32 v14, v38, v14
	v_div_scale_f32 v38, s3, v15, v25, v15
	v_fma_f32 v9, -v28, v30, v9
	v_fmac_f32_e32 v34, v6, v39
	v_fma_f32 v6, -v24, v41, v36
	v_fma_f32 v28, -v35, v40, 1.0
	v_mul_f32_e32 v13, v38, v14
	s_mov_b32 vcc_lo, s1
	s_waitcnt lgkmcnt(0)
	v_add_f32_e32 v11, v11, v12
	v_fmac_f32_e32 v41, v6, v29
	v_fmac_f32_e32 v40, v28, v40
	v_div_scale_f32 v28, s1, v1, v17, v1
	v_div_fmas_f32 v9, v9, v37, v30
	v_fma_f32 v30, -v33, v34, v31
	v_fma_f32 v6, -v27, v13, v38
	;; [unrolled: 1-line block ×3, first 2 shown]
	v_mul_f32_e32 v31, v28, v40
	s_mov_b32 vcc_lo, s2
	v_div_fixup_f32 v9, v9, v25, v20
	v_div_fmas_f32 v30, v30, v39, v34
	s_mov_b32 vcc_lo, s0
	v_fmac_f32_e32 v13, v6, v14
	v_div_fmas_f32 v6, v24, v29, v41
	v_fma_f32 v24, -v35, v31, v28
	s_mov_b32 vcc_lo, s3
	v_add_f32_e32 v9, v10, v9
	v_fma_f32 v12, -v27, v13, v38
	v_div_fixup_f32 v6, v6, v32, v26
	v_fmac_f32_e32 v31, v24, v40
	v_div_fmas_f32 v12, v12, v14, v13
	s_mov_b32 vcc_lo, s1
	v_fma_f32 v10, -v35, v31, v28
	v_div_fixup_f32 v13, v19, v17, v23
	v_add_f32_e32 v6, v11, v6
	v_div_fixup_f32 v11, v12, v25, v15
	v_div_fixup_f32 v12, v30, v17, v21
	v_div_fmas_f32 v10, v10, v40, v31
	v_div_fixup_f32 v14, v22, v17, v18
	v_add_f32_e32 v13, v16, v13
	v_add_f32_e32 v6, v11, v6
	v_cmp_lt_f32_e32 vcc_lo, v3, v8
	v_div_fixup_f32 v1, v10, v17, v1
	v_add_f32_e32 v10, v12, v9
	v_add_f32_e32 v4, v4, v14
	v_mov_b32_e32 v9, v13
	v_cndmask_b32_e32 v3, v3, v8, vcc_lo
	v_add_f32_e32 v11, v1, v6
	v_mov_b32_e32 v1, v17
.LBB17_74:
	s_or_b32 exec_lo, exec_lo, s9
	s_mov_b32 s0, exec_lo
	v_cmpx_eq_u32_e32 0, v5
	s_cbranch_execz .LBB17_76
; %bb.75:
	v_lshrrev_b32_e32 v6, 5, v0
	v_mul_u32_u24_e32 v6, 28, v6
	ds_write2_b32 v6, v1, v2 offset1:1
	ds_write2_b32 v6, v3, v4 offset0:2 offset1:3
	ds_write2_b32 v6, v9, v10 offset0:4 offset1:5
	ds_write_b32 v6, v11 offset:24
.LBB17_76:
	s_or_b32 exec_lo, exec_lo, s0
	s_mov_b32 s9, exec_lo
	s_waitcnt lgkmcnt(0)
	s_barrier
	buffer_gl0_inv
	v_cmpx_gt_u32_e32 8, v0
	s_cbranch_execz .LBB17_84
; %bb.77:
	v_mul_u32_u24_e32 v8, 28, v5
	v_and_b32_e32 v6, 7, v5
	s_add_i32 s8, s8, 31
	ds_read2_b32 v[1:2], v8 offset1:1
	ds_read2_b32 v[3:4], v8 offset0:2 offset1:3
	ds_read2_b32 v[9:10], v8 offset0:4 offset1:5
	ds_read_b32 v11, v8 offset:24
	v_cmp_ne_u32_e32 vcc_lo, 7, v6
	s_lshr_b32 s8, s8, 5
	v_add_co_ci_u32_e64 v8, null, 0, v5, vcc_lo
	v_lshlrev_b32_e32 v8, 2, v8
	s_waitcnt lgkmcnt(3)
	ds_bpermute_b32 v15, v8, v1
	ds_bpermute_b32 v19, v8, v2
	s_waitcnt lgkmcnt(4)
	ds_bpermute_b32 v12, v8, v3
	ds_bpermute_b32 v20, v8, v4
	;; [unrolled: 3-line block ×3, first 2 shown]
	s_waitcnt lgkmcnt(6)
	ds_bpermute_b32 v13, v8, v11
	v_add_nc_u32_e32 v8, 1, v6
	v_mov_b32_e32 v18, v10
	v_mov_b32_e32 v17, v9
	v_cmp_gt_u32_e32 vcc_lo, s8, v8
	v_mov_b32_e32 v8, v1
	s_and_saveexec_b32 s10, vcc_lo
	s_cbranch_execz .LBB17_79
; %bb.78:
	s_waitcnt lgkmcnt(3)
	v_sub_f32_e32 v17, v20, v4
	v_cmp_gt_f32_e32 vcc_lo, v2, v19
	v_add_f32_e32 v8, v1, v15
	v_sub_f32_e32 v21, v1, v15
	v_mul_f32_e32 v22, v9, v15
	v_mul_f32_e32 v20, v17, v17
	v_cndmask_b32_e32 v2, v2, v19, vcc_lo
	v_mul_f32_e32 v19, v17, v15
	v_mul_f32_e32 v25, v1, v1
	;; [unrolled: 1-line block ×5, first 2 shown]
	v_div_scale_f32 v23, null, v8, v8, v19
	v_div_scale_f32 v36, vcc_lo, v19, v8, v19
	v_mul_f32_e32 v24, v24, v15
	v_rcp_f32_e32 v28, v23
	v_mul_f32_e32 v30, v1, v27
	v_mul_f32_e32 v27, v17, v27
	s_waitcnt lgkmcnt(2)
	v_fma_f32 v22, v1, v16, -v22
	v_div_scale_f32 v31, null, v8, v8, v24
	v_mul_f32_e32 v30, v30, v15
	v_fma_f32 v32, -v1, v15, v25
	v_mul_f32_e32 v27, v1, v27
	v_rcp_f32_e32 v35, v31
	v_fma_f32 v34, -v23, v28, 1.0
	v_mul_f32_e32 v21, v21, v30
	v_mul_f32_e32 v26, v8, v8
	;; [unrolled: 1-line block ×3, first 2 shown]
	v_fmac_f32_e32 v32, v15, v15
	v_fmac_f32_e32 v28, v34, v28
	v_mul_f32_e32 v27, v27, v15
	v_mul_f32_e32 v33, v8, v26
	v_div_scale_f32 v29, null, v26, v26, v21
	v_mul_f32_e32 v30, v36, v28
	v_fma_f32 v34, -v31, v35, 1.0
	v_mul_f32_e32 v27, v32, v27
	v_add_f32_e32 v18, v9, v16
	v_div_scale_f32 v37, s0, v24, v8, v24
	v_fma_f32 v39, -v23, v30, v36
	v_fmac_f32_e32 v35, v34, v35
	v_div_scale_f32 v34, null, v8, v8, v22
	v_rcp_f32_e32 v38, v29
	v_fmac_f32_e32 v30, v39, v28
	v_mul_f32_e32 v16, v25, v16
	v_rcp_f32_e32 v40, v34
	v_div_scale_f32 v25, null, v33, v33, v27
	v_fma_f32 v23, -v23, v30, v36
	v_mul_f32_e32 v39, v37, v35
	v_mul_f32_e32 v20, 0x40c00000, v20
	v_mul_f32_e32 v17, 4.0, v17
	v_fma_f32 v41, -v29, v38, 1.0
	v_div_fmas_f32 v23, v23, v28, v30
	v_mul_f32_e32 v28, v15, v15
	v_rcp_f32_e32 v30, v25
	v_mul_f32_e32 v15, v10, v15
	v_fma_f32 v36, -v31, v39, v37
	v_fmac_f32_e32 v38, v41, v38
	v_fmac_f32_e32 v16, v9, v28
	v_fma_f32 v28, -v34, v40, 1.0
	s_waitcnt lgkmcnt(1)
	v_fma_f32 v1, v1, v14, -v15
	v_fmac_f32_e32 v39, v36, v35
	v_div_scale_f32 v9, s1, v21, v26, v21
	v_mul_f32_e32 v16, v20, v16
	v_fmac_f32_e32 v40, v28, v40
	v_fma_f32 v36, -v25, v30, 1.0
	v_mul_f32_e32 v1, v17, v1
	v_fma_f32 v20, -v31, v39, v37
	v_div_scale_f32 v28, null, v26, v26, v16
	v_mul_f32_e32 v31, v9, v38
	v_fmac_f32_e32 v30, v36, v30
	v_div_scale_f32 v36, null, v8, v8, v1
	v_rcp_f32_e32 v15, v28
	v_div_scale_f32 v32, s2, v22, v8, v22
	s_mov_b32 vcc_lo, s0
	v_fma_f32 v17, -v29, v31, v9
	v_div_scale_f32 v37, s0, v27, v33, v27
	v_rcp_f32_e32 v41, v36
	v_div_fmas_f32 v20, v20, v35, v39
	v_mul_f32_e32 v35, v32, v40
	v_fma_f32 v39, -v28, v15, 1.0
	v_fmac_f32_e32 v31, v17, v38
	v_mul_f32_e32 v42, v37, v30
	v_add_f32_e32 v10, v10, v14
	v_fma_f32 v17, -v34, v35, v32
	v_fmac_f32_e32 v15, v39, v15
	v_div_scale_f32 v39, s3, v16, v26, v16
	v_fma_f32 v9, -v29, v31, v9
	v_fma_f32 v14, -v25, v42, v37
	v_fma_f32 v29, -v36, v41, 1.0
	v_fmac_f32_e32 v35, v17, v40
	v_mul_f32_e32 v17, v39, v15
	s_mov_b32 vcc_lo, s1
	v_fmac_f32_e32 v42, v14, v30
	v_fmac_f32_e32 v41, v29, v41
	v_div_scale_f32 v29, s1, v1, v8, v1
	v_div_fmas_f32 v9, v9, v38, v31
	v_fma_f32 v31, -v34, v35, v32
	v_fma_f32 v14, -v28, v17, v39
	;; [unrolled: 1-line block ×3, first 2 shown]
	v_mul_f32_e32 v32, v29, v41
	s_mov_b32 vcc_lo, s2
	v_div_fixup_f32 v9, v9, v26, v21
	v_div_fmas_f32 v31, v31, v40, v35
	s_mov_b32 vcc_lo, s0
	v_fmac_f32_e32 v17, v14, v15
	v_div_fmas_f32 v14, v25, v30, v42
	v_fma_f32 v25, -v36, v32, v29
	s_waitcnt lgkmcnt(0)
	v_add_f32_e32 v11, v11, v13
	s_mov_b32 vcc_lo, s3
	v_fma_f32 v13, -v28, v17, v39
	v_div_fixup_f32 v14, v14, v33, v27
	v_fmac_f32_e32 v32, v25, v41
	v_add_f32_e32 v9, v10, v9
	v_div_fmas_f32 v13, v13, v15, v17
	s_mov_b32 vcc_lo, s1
	v_fma_f32 v10, -v36, v32, v29
	v_div_fixup_f32 v15, v20, v8, v24
	v_add_f32_e32 v11, v11, v14
	v_div_fixup_f32 v13, v13, v26, v16
	v_div_fixup_f32 v14, v31, v8, v22
	v_div_fmas_f32 v10, v10, v41, v32
	v_div_fixup_f32 v16, v23, v8, v19
	v_add_f32_e32 v17, v18, v15
	v_add_f32_e32 v11, v13, v11
	;; [unrolled: 1-line block ×3, first 2 shown]
	v_div_fixup_f32 v1, v10, v8, v1
	v_cmp_lt_f32_e32 vcc_lo, v3, v12
	v_add_f32_e32 v4, v4, v16
	v_mov_b32_e32 v9, v17
	v_mov_b32_e32 v10, v18
	v_add_f32_e32 v11, v1, v11
	v_cndmask_b32_e32 v3, v3, v12, vcc_lo
	v_mov_b32_e32 v1, v8
.LBB17_79:
	s_or_b32 exec_lo, exec_lo, s10
	v_cmp_gt_u32_e32 vcc_lo, 6, v6
	s_waitcnt lgkmcnt(3)
	v_add_nc_u32_e32 v20, 2, v6
	s_mov_b32 s10, exec_lo
	v_cndmask_b32_e64 v12, 0, 2, vcc_lo
	v_add_lshl_u32 v12, v12, v5, 2
	s_waitcnt lgkmcnt(1)
	ds_bpermute_b32 v14, v12, v8
	ds_bpermute_b32 v16, v12, v2
	;; [unrolled: 1-line block ×5, first 2 shown]
	s_waitcnt lgkmcnt(5)
	ds_bpermute_b32 v13, v12, v18
	ds_bpermute_b32 v12, v12, v11
	v_cmpx_gt_u32_e64 s8, v20
	s_cbranch_execz .LBB17_81
; %bb.80:
	s_waitcnt lgkmcnt(3)
	v_sub_f32_e32 v17, v19, v4
	v_add_f32_e32 v8, v1, v14
	v_cmp_gt_f32_e32 vcc_lo, v2, v16
	v_sub_f32_e32 v20, v1, v14
	v_mul_f32_e32 v21, v9, v14
	v_mul_f32_e32 v18, v17, v14
	;; [unrolled: 1-line block ×3, first 2 shown]
	v_cndmask_b32_e32 v2, v2, v16, vcc_lo
	v_mul_f32_e32 v24, v1, v1
	v_mul_f32_e32 v28, 0x40400000, v17
	v_div_scale_f32 v22, null, v8, v8, v18
	v_mul_f32_e32 v23, v1, v19
	v_mul_f32_e32 v26, v17, v19
	v_div_scale_f32 v35, vcc_lo, v18, v8, v18
	v_rcp_f32_e32 v27, v22
	v_mul_f32_e32 v23, v23, v14
	v_mul_f32_e32 v29, v1, v26
	;; [unrolled: 1-line block ×3, first 2 shown]
	s_waitcnt lgkmcnt(2)
	v_fma_f32 v21, v1, v15, -v21
	v_fma_f32 v31, -v1, v14, v24
	v_div_scale_f32 v30, null, v8, v8, v23
	v_mul_f32_e32 v29, v29, v14
	v_mul_f32_e32 v26, v1, v26
	v_fma_f32 v33, -v22, v27, 1.0
	v_rcp_f32_e32 v34, v30
	v_mul_f32_e32 v25, v8, v8
	v_mul_f32_e32 v20, v20, v29
	;; [unrolled: 1-line block ×3, first 2 shown]
	v_fmac_f32_e32 v27, v33, v27
	v_fmac_f32_e32 v31, v14, v14
	v_mul_f32_e32 v26, v26, v14
	v_mul_f32_e32 v32, v8, v25
	v_div_scale_f32 v28, null, v25, v25, v20
	v_mul_f32_e32 v29, v35, v27
	v_fma_f32 v33, -v30, v34, 1.0
	v_mul_f32_e32 v26, v31, v26
	v_add_f32_e32 v16, v9, v15
	v_div_scale_f32 v36, s0, v23, v8, v23
	v_fma_f32 v38, -v22, v29, v35
	v_fmac_f32_e32 v34, v33, v34
	v_div_scale_f32 v33, null, v8, v8, v21
	v_rcp_f32_e32 v37, v28
	v_fmac_f32_e32 v29, v38, v27
	v_mul_f32_e32 v15, v24, v15
	v_rcp_f32_e32 v39, v33
	v_div_scale_f32 v24, null, v32, v32, v26
	v_fma_f32 v22, -v22, v29, v35
	v_mul_f32_e32 v38, v36, v34
	v_mul_f32_e32 v19, 0x40c00000, v19
	v_mul_f32_e32 v17, 4.0, v17
	v_fma_f32 v40, -v28, v37, 1.0
	v_div_fmas_f32 v22, v22, v27, v29
	v_mul_f32_e32 v27, v14, v14
	v_rcp_f32_e32 v29, v24
	v_mul_f32_e32 v14, v10, v14
	v_fma_f32 v35, -v30, v38, v36
	v_fmac_f32_e32 v37, v40, v37
	v_fmac_f32_e32 v15, v9, v27
	v_fma_f32 v27, -v33, v39, 1.0
	s_waitcnt lgkmcnt(1)
	v_fma_f32 v1, v1, v13, -v14
	v_fmac_f32_e32 v38, v35, v34
	v_div_scale_f32 v9, s1, v20, v25, v20
	v_mul_f32_e32 v15, v19, v15
	v_fmac_f32_e32 v39, v27, v39
	v_fma_f32 v35, -v24, v29, 1.0
	v_mul_f32_e32 v1, v17, v1
	v_fma_f32 v19, -v30, v38, v36
	v_div_scale_f32 v27, null, v25, v25, v15
	v_mul_f32_e32 v30, v9, v37
	v_fmac_f32_e32 v29, v35, v29
	v_div_scale_f32 v35, null, v8, v8, v1
	v_rcp_f32_e32 v14, v27
	v_div_scale_f32 v31, s2, v21, v8, v21
	s_mov_b32 vcc_lo, s0
	v_fma_f32 v17, -v28, v30, v9
	v_div_scale_f32 v36, s0, v26, v32, v26
	v_rcp_f32_e32 v40, v35
	v_div_fmas_f32 v19, v19, v34, v38
	v_mul_f32_e32 v34, v31, v39
	v_fma_f32 v38, -v27, v14, 1.0
	v_fmac_f32_e32 v30, v17, v37
	v_mul_f32_e32 v41, v36, v29
	v_add_f32_e32 v10, v10, v13
	v_fma_f32 v17, -v33, v34, v31
	v_fmac_f32_e32 v14, v38, v14
	v_div_scale_f32 v38, s3, v15, v25, v15
	v_fma_f32 v9, -v28, v30, v9
	v_fma_f32 v13, -v24, v41, v36
	v_fma_f32 v28, -v35, v40, 1.0
	v_fmac_f32_e32 v34, v17, v39
	v_mul_f32_e32 v17, v38, v14
	s_mov_b32 vcc_lo, s1
	v_fmac_f32_e32 v41, v13, v29
	v_fmac_f32_e32 v40, v28, v40
	v_div_scale_f32 v28, s1, v1, v8, v1
	v_div_fmas_f32 v9, v9, v37, v30
	v_fma_f32 v30, -v33, v34, v31
	v_fma_f32 v13, -v27, v17, v38
	;; [unrolled: 1-line block ×3, first 2 shown]
	v_mul_f32_e32 v31, v28, v40
	s_mov_b32 vcc_lo, s2
	v_div_fixup_f32 v9, v9, v25, v20
	v_div_fmas_f32 v30, v30, v39, v34
	s_mov_b32 vcc_lo, s0
	v_fmac_f32_e32 v17, v13, v14
	v_div_fmas_f32 v13, v24, v29, v41
	v_fma_f32 v24, -v35, v31, v28
	s_waitcnt lgkmcnt(0)
	v_add_f32_e32 v11, v11, v12
	s_mov_b32 vcc_lo, s3
	v_fma_f32 v12, -v27, v17, v38
	v_div_fixup_f32 v13, v13, v32, v26
	v_fmac_f32_e32 v31, v24, v40
	v_add_f32_e32 v9, v10, v9
	v_div_fmas_f32 v12, v12, v14, v17
	s_mov_b32 vcc_lo, s1
	v_fma_f32 v10, -v35, v31, v28
	v_div_fixup_f32 v14, v19, v8, v23
	v_add_f32_e32 v11, v11, v13
	v_div_fixup_f32 v12, v12, v25, v15
	v_div_fixup_f32 v13, v30, v8, v21
	v_div_fmas_f32 v10, v10, v40, v31
	v_div_fixup_f32 v15, v22, v8, v18
	v_add_f32_e32 v17, v16, v14
	v_add_f32_e32 v11, v12, v11
	;; [unrolled: 1-line block ×3, first 2 shown]
	v_div_fixup_f32 v1, v10, v8, v1
	v_cmp_lt_f32_e32 vcc_lo, v3, v5
	v_add_f32_e32 v4, v4, v15
	v_mov_b32_e32 v9, v17
	v_mov_b32_e32 v10, v18
	v_add_f32_e32 v11, v1, v11
	v_cndmask_b32_e32 v3, v3, v5, vcc_lo
	v_mov_b32_e32 v1, v8
.LBB17_81:
	s_or_b32 exec_lo, exec_lo, s10
	s_waitcnt lgkmcnt(0)
	v_or_b32_e32 v12, 16, v7
	v_add_nc_u32_e32 v6, 4, v6
	s_mov_b32 s10, exec_lo
	ds_bpermute_b32 v13, v12, v8
	ds_bpermute_b32 v14, v12, v2
	;; [unrolled: 1-line block ×7, first 2 shown]
	v_cmpx_gt_u32_e64 s8, v6
	s_cbranch_execz .LBB17_83
; %bb.82:
	s_waitcnt lgkmcnt(3)
	v_sub_f32_e32 v6, v15, v4
	v_cmp_gt_f32_e32 vcc_lo, v2, v14
	v_add_f32_e32 v15, v1, v13
	v_sub_f32_e32 v16, v1, v13
	v_mul_f32_e32 v20, v1, v1
	v_mul_f32_e32 v18, v6, v6
	v_cndmask_b32_e32 v2, v2, v14, vcc_lo
	v_mul_f32_e32 v14, v6, v13
	v_mul_f32_e32 v17, v9, v13
	v_fma_f32 v27, -v1, v13, v20
	v_mul_f32_e32 v22, v1, v18
	v_mul_f32_e32 v23, v6, v18
	v_div_scale_f32 v19, null, v15, v15, v14
	v_div_scale_f32 v31, vcc_lo, v14, v15, v14
	v_mul_f32_e32 v22, v22, v13
	v_rcp_f32_e32 v24, v19
	v_mul_f32_e32 v26, v1, v23
	v_mul_f32_e32 v23, v6, v23
	;; [unrolled: 1-line block ×3, first 2 shown]
	v_div_scale_f32 v29, null, v15, v15, v22
	v_mul_f32_e32 v26, v26, v13
	v_mul_f32_e32 v23, v1, v23
	;; [unrolled: 1-line block ×3, first 2 shown]
	v_rcp_f32_e32 v32, v29
	v_fma_f32 v30, -v19, v24, 1.0
	v_mul_f32_e32 v16, v16, v26
	s_waitcnt lgkmcnt(2)
	v_fma_f32 v17, v1, v8, -v17
	v_div_scale_f32 v36, s0, v22, v15, v22
	v_fmac_f32_e32 v24, v30, v24
	v_fmac_f32_e32 v27, v13, v13
	v_mul_f32_e32 v23, v23, v13
	v_mul_f32_e32 v20, v20, v8
	v_fma_f32 v33, -v29, v32, 1.0
	v_mul_f32_e32 v26, v31, v24
	v_mul_f32_e32 v28, v15, v21
	;; [unrolled: 1-line block ×3, first 2 shown]
	v_div_scale_f32 v25, null, v21, v21, v16
	v_fma_f32 v35, -v19, v26, v31
	v_fmac_f32_e32 v32, v33, v32
	v_mul_f32_e32 v23, v27, v23
	v_mul_f32_e32 v18, 0x40c00000, v18
	v_div_scale_f32 v30, null, v15, v15, v17
	v_fmac_f32_e32 v26, v35, v24
	v_mul_f32_e32 v35, v36, v32
	v_rcp_f32_e32 v34, v25
	v_rcp_f32_e32 v33, v30
	v_mul_f32_e32 v6, 4.0, v6
	v_fma_f32 v19, -v19, v26, v31
	v_mul_f32_e32 v31, v13, v13
	v_mul_f32_e32 v13, v10, v13
	v_add_f32_e32 v8, v9, v8
	v_div_fmas_f32 v19, v19, v24, v26
	v_fmac_f32_e32 v20, v9, v31
	v_div_scale_f32 v24, null, v28, v28, v23
	v_fma_f32 v26, -v29, v35, v36
	v_fma_f32 v37, -v25, v34, 1.0
	v_mul_f32_e32 v18, v18, v20
	v_rcp_f32_e32 v31, v24
	s_waitcnt lgkmcnt(1)
	v_fma_f32 v1, v1, v7, -v13
	v_fmac_f32_e32 v35, v26, v32
	v_fmac_f32_e32 v34, v37, v34
	v_div_scale_f32 v26, null, v21, v21, v18
	v_div_fixup_f32 v14, v19, v15, v14
	v_div_scale_f32 v19, s1, v16, v21, v16
	v_rcp_f32_e32 v38, v26
	v_fma_f32 v27, -v30, v33, 1.0
	v_fma_f32 v37, -v24, v31, 1.0
	v_mul_f32_e32 v1, v6, v1
	v_mul_f32_e32 v20, v19, v34
	v_fma_f32 v13, -v29, v35, v36
	v_fmac_f32_e32 v33, v27, v33
	v_div_scale_f32 v27, s2, v17, v15, v17
	v_fmac_f32_e32 v31, v37, v31
	v_fma_f32 v37, -v26, v38, 1.0
	v_div_scale_f32 v39, null, v15, v15, v1
	v_fma_f32 v29, -v25, v20, v19
	v_mul_f32_e32 v36, v27, v33
	v_div_scale_f32 v6, s3, v23, v28, v23
	v_fmac_f32_e32 v38, v37, v38
	v_rcp_f32_e32 v37, v39
	v_fmac_f32_e32 v20, v29, v34
	v_fma_f32 v29, -v30, v36, v27
	v_mul_f32_e32 v40, v6, v31
	s_mov_b32 vcc_lo, s0
	v_div_scale_f32 v41, s8, v18, v21, v18
	v_div_fmas_f32 v13, v13, v32, v35
	v_fma_f32 v19, -v25, v20, v19
	v_fmac_f32_e32 v36, v29, v33
	v_fma_f32 v25, -v24, v40, v6
	v_fma_f32 v32, -v39, v37, 1.0
	s_mov_b32 vcc_lo, s1
	v_mul_f32_e32 v29, v41, v38
	v_div_fmas_f32 v19, v19, v34, v20
	v_fma_f32 v20, -v30, v36, v27
	v_fmac_f32_e32 v40, v25, v31
	v_fmac_f32_e32 v37, v32, v37
	v_div_scale_f32 v27, s0, v1, v15, v1
	v_fma_f32 v25, -v26, v29, v41
	v_fma_f32 v6, -v24, v40, v6
	s_mov_b32 vcc_lo, s2
	v_mul_f32_e32 v24, v27, v37
	v_div_fmas_f32 v20, v20, v33, v36
	v_fmac_f32_e32 v29, v25, v38
	s_mov_b32 vcc_lo, s3
	s_waitcnt lgkmcnt(0)
	v_add_f32_e32 v9, v11, v12
	v_fma_f32 v25, -v39, v24, v27
	v_div_fmas_f32 v6, v6, v31, v40
	v_fma_f32 v11, -v26, v29, v41
	s_mov_b32 vcc_lo, s8
	v_add_f32_e32 v7, v10, v7
	v_fmac_f32_e32 v24, v25, v37
	v_div_fixup_f32 v6, v6, v28, v23
	v_div_fmas_f32 v11, v11, v38, v29
	s_mov_b32 vcc_lo, s0
	v_div_fixup_f32 v10, v19, v21, v16
	v_fma_f32 v12, -v39, v24, v27
	v_add_f32_e32 v6, v9, v6
	v_div_fixup_f32 v9, v11, v21, v18
	v_add_f32_e32 v4, v4, v14
	v_add_f32_e32 v7, v7, v10
	v_div_fmas_f32 v11, v12, v37, v24
	v_div_fixup_f32 v12, v13, v15, v22
	v_div_fixup_f32 v10, v20, v15, v17
	v_add_f32_e32 v6, v9, v6
	v_cmp_lt_f32_e32 vcc_lo, v3, v5
	v_div_fixup_f32 v1, v11, v15, v1
	v_add_f32_e32 v9, v8, v12
	v_add_f32_e32 v10, v10, v7
	v_cndmask_b32_e32 v3, v3, v5, vcc_lo
	v_add_f32_e32 v11, v1, v6
	v_mov_b32_e32 v1, v15
.LBB17_83:
	s_or_b32 exec_lo, exec_lo, s10
.LBB17_84:
	s_or_b32 exec_lo, exec_lo, s9
.LBB17_85:
                                        ; implicit-def: $vgpr14
                                        ; implicit-def: $vgpr8
	s_mov_b32 s0, exec_lo
	v_cmpx_eq_u32_e32 0, v0
	s_xor_b32 s9, exec_lo, s0
	s_cbranch_execz .LBB17_89
; %bb.86:
	s_waitcnt lgkmcnt(5)
	v_mov_b32_e32 v14, s18
	v_mov_b32_e32 v13, s17
	s_waitcnt lgkmcnt(0)
	v_mov_b32_e32 v12, s16
	v_mov_b32_e32 v8, s15
	;; [unrolled: 1-line block ×5, first 2 shown]
	s_cmp_eq_u64 s[22:23], 0
	s_cbranch_scc1 .LBB17_88
; %bb.87:
	v_subrev_f32_e32 v4, s15, v4
	v_cmp_gt_f32_e32 vcc_lo, s13, v2
	v_add_f32_e32 v5, s12, v1
	v_mul_f32_e32 v8, s16, v1
	v_mul_f32_e64 v14, s12, s12
	v_mul_f32_e32 v12, v4, v4
	v_cndmask_b32_e32 v6, s13, v2, vcc_lo
	v_mul_f32_e32 v2, v4, v1
	v_mul_f32_e32 v20, 0x40400000, v4
	v_fma_f32 v8, s12, v9, -v8
	v_mul_f32_e32 v16, s12, v12
	v_mul_f32_e32 v17, v4, v12
	v_div_scale_f32 v13, null, v5, v5, v2
	v_div_scale_f32 v25, vcc_lo, v2, v5, v2
	v_mul_f32_e32 v16, v1, v16
	v_rcp_f32_e32 v18, v13
	v_mul_f32_e32 v21, s12, v17
	v_mul_f32_e32 v8, v20, v8
	;; [unrolled: 1-line block ×3, first 2 shown]
	v_div_scale_f32 v23, null, v5, v5, v16
	v_sub_f32_e32 v7, s12, v1
	v_mul_f32_e32 v15, v1, v1
	v_fma_f32 v22, -s12, v1, v14
	v_rcp_f32_e32 v26, v23
	v_fma_f32 v24, -v13, v18, 1.0
	v_mul_f32_e32 v21, v1, v21
	v_mul_f32_e32 v17, s12, v17
	;; [unrolled: 1-line block ×3, first 2 shown]
	v_fmac_f32_e32 v22, v1, v1
	v_fmac_f32_e32 v18, v24, v18
	v_mul_f32_e32 v7, v7, v21
	v_mul_f32_e32 v17, v1, v17
	;; [unrolled: 1-line block ×3, first 2 shown]
	v_fma_f32 v27, -v23, v26, 1.0
	v_mul_f32_e32 v24, v25, v18
	v_mul_f32_e32 v21, v5, v19
	v_div_scale_f32 v20, null, v19, v19, v7
	v_fmac_f32_e32 v26, v27, v26
	v_fma_f32 v29, -v13, v24, v25
	v_div_scale_f32 v27, null, v5, v5, v8
	v_mul_f32_e32 v17, v22, v17
	v_mul_f32_e32 v12, 0x40c00000, v12
	v_fmac_f32_e32 v24, v29, v18
	v_fmac_f32_e32 v15, v14, v9
	v_rcp_f32_e32 v28, v20
	v_div_scale_f32 v30, s0, v16, v5, v16
	v_fma_f32 v13, -v13, v24, v25
	v_rcp_f32_e32 v25, v27
	v_mul_f32_e32 v12, v12, v15
	v_mul_f32_e32 v1, s17, v1
	;; [unrolled: 1-line block ×3, first 2 shown]
	v_div_fmas_f32 v13, v13, v18, v24
	v_div_scale_f32 v18, null, v21, v21, v17
	v_fma_f32 v31, -v20, v28, 1.0
	v_mul_f32_e32 v4, 4.0, v4
	v_fma_f32 v1, s12, v10, -v1
	v_fma_f32 v14, -v27, v25, 1.0
	v_rcp_f32_e32 v24, v18
	v_fma_f32 v22, -v23, v29, v30
	v_fmac_f32_e32 v28, v31, v28
	v_div_fixup_f32 v2, v13, v5, v2
	v_fmac_f32_e32 v25, v14, v25
	v_div_scale_f32 v14, null, v19, v19, v12
	v_div_scale_f32 v13, s1, v7, v19, v7
	v_mul_f32_e32 v1, v4, v1
	v_rcp_f32_e32 v32, v14
	v_fma_f32 v31, -v18, v24, 1.0
	v_fmac_f32_e32 v29, v22, v26
	v_mul_f32_e32 v15, v13, v28
	v_div_scale_f32 v22, s2, v8, v5, v8
	v_fmac_f32_e32 v24, v31, v24
	v_div_scale_f32 v34, null, v5, v5, v1
	v_fma_f32 v23, -v23, v29, v30
	v_fma_f32 v31, -v14, v32, 1.0
	v_fma_f32 v30, -v20, v15, v13
	v_mul_f32_e32 v33, v22, v25
	v_div_scale_f32 v4, s3, v17, v21, v17
	v_fmac_f32_e32 v32, v31, v32
	v_rcp_f32_e32 v31, v34
	v_fmac_f32_e32 v15, v30, v28
	v_fma_f32 v30, -v27, v33, v22
	v_mul_f32_e32 v35, v4, v24
	s_mov_b32 vcc_lo, s0
	v_div_scale_f32 v36, s8, v12, v19, v12
	v_div_fmas_f32 v23, v23, v26, v29
	v_fma_f32 v13, -v20, v15, v13
	v_fmac_f32_e32 v33, v30, v25
	v_fma_f32 v20, -v18, v35, v4
	v_fma_f32 v29, -v34, v31, 1.0
	s_mov_b32 vcc_lo, s1
	v_mul_f32_e32 v26, v36, v32
	v_div_fmas_f32 v13, v13, v28, v15
	v_fma_f32 v15, -v27, v33, v22
	v_fmac_f32_e32 v35, v20, v24
	v_fmac_f32_e32 v31, v29, v31
	v_div_scale_f32 v22, s0, v1, v5, v1
	v_fma_f32 v20, -v14, v26, v36
	v_fma_f32 v4, -v18, v35, v4
	s_mov_b32 vcc_lo, s2
	v_mul_f32_e32 v18, v22, v31
	v_div_fmas_f32 v15, v15, v25, v33
	v_fmac_f32_e32 v26, v20, v32
	s_mov_b32 vcc_lo, s3
	v_add_f32_e32 v11, s18, v11
	v_fma_f32 v20, -v34, v18, v22
	v_div_fmas_f32 v4, v4, v24, v35
	v_fma_f32 v14, -v14, v26, v36
	s_mov_b32 vcc_lo, s8
	v_div_fixup_f32 v7, v13, v19, v7
	v_fmac_f32_e32 v18, v20, v31
	v_div_fixup_f32 v4, v4, v21, v17
	v_div_fmas_f32 v14, v14, v32, v26
	s_mov_b32 vcc_lo, s0
	v_add_f32_e32 v10, s17, v10
	v_fma_f32 v13, -v34, v18, v22
	v_add_f32_e32 v4, v11, v4
	v_div_fixup_f32 v11, v14, v19, v12
	v_add_f32_e32 v9, s16, v9
	v_add_f32_e32 v10, v10, v7
	v_div_fmas_f32 v12, v13, v31, v18
	v_div_fixup_f32 v13, v23, v5, v16
	v_div_fixup_f32 v14, v15, v5, v8
	v_add_f32_e32 v4, v11, v4
	v_cmp_lt_f32_e32 vcc_lo, s14, v3
	v_div_fixup_f32 v1, v12, v5, v1
	v_add_f32_e32 v8, s15, v2
	v_add_f32_e32 v12, v9, v13
	v_add_f32_e32 v13, v14, v10
	v_cndmask_b32_e32 v7, s14, v3, vcc_lo
	v_add_f32_e32 v14, v1, v4
.LBB17_88:
	s_or_b32 s19, s19, exec_lo
.LBB17_89:
	s_or_b32 exec_lo, exec_lo, s9
	s_branch .LBB17_98
.LBB17_90:
	s_cmp_eq_u32 s26, 1
	s_cbranch_scc0 .LBB17_97
; %bb.91:
	s_waitcnt lgkmcnt(4)
	v_mbcnt_lo_u32_b32 v5, -1, 0
	s_mov_b32 s7, 0
	s_lshr_b64 s[0:1], s[22:23], 8
	s_lshl_b32 s10, s6, 8
	s_cmp_lg_u64 s[0:1], s[6:7]
	s_cbranch_scc0 .LBB17_100
; %bb.92:
	s_mul_i32 s0, s10, 28
	s_mul_hi_u32 s1, s10, 28
	s_add_u32 s0, s20, s0
	s_addc_u32 s1, s21, s1
	v_mad_u64_u32 v[1:2], null, v0, 28, s[0:1]
	s_waitcnt lgkmcnt(0)
	s_clause 0x1
	global_load_dwordx4 v[6:9], v[1:2], off
	global_load_dwordx3 v[12:14], v[1:2], off offset:16
	s_waitcnt vmcnt(1)
	v_mov_b32_dpp v1, v7 quad_perm:[1,0,3,2] row_mask:0xf bank_mask:0xf
	v_mov_b32_dpp v10, v8 quad_perm:[1,0,3,2] row_mask:0xf bank_mask:0xf
	;; [unrolled: 1-line block ×3, first 2 shown]
	s_waitcnt vmcnt(0)
	v_mov_b32_dpp v15, v13 quad_perm:[1,0,3,2] row_mask:0xf bank_mask:0xf
	v_mov_b32_dpp v16, v14 quad_perm:[1,0,3,2] row_mask:0xf bank_mask:0xf
	v_cmp_lt_f32_e32 vcc_lo, v7, v1
	v_mov_b32_dpp v4, v6 quad_perm:[1,0,3,2] row_mask:0xf bank_mask:0xf
	v_sub_f32_e32 v18, v9, v3
	v_mov_b32_dpp v11, v12 quad_perm:[1,0,3,2] row_mask:0xf bank_mask:0xf
	v_mul_f32_e32 v17, v6, v6
	v_cndmask_b32_e32 v19, v1, v7, vcc_lo
	v_cmp_gt_f32_e32 vcc_lo, v8, v10
	v_add_f32_e32 v7, v14, v16
	v_mul_f32_e32 v14, v6, v15
	v_mul_f32_e32 v1, v6, v11
	v_mov_b32_dpp v24, v19 quad_perm:[2,3,0,1] row_mask:0xf bank_mask:0xf
	v_cndmask_b32_e32 v20, v10, v8, vcc_lo
	v_add_f32_e32 v8, v13, v15
	v_mul_f32_e32 v15, v18, v18
	v_mul_f32_e32 v10, v4, v4
	v_cmp_lt_f32_e64 s0, v19, v24
	v_mov_b32_dpp v25, v20 quad_perm:[2,3,0,1] row_mask:0xf bank_mask:0xf
	v_mul_f32_e32 v23, v17, v11
	v_mul_f32_e32 v28, v18, v15
	v_add_f32_e32 v2, v6, v4
	v_cndmask_b32_e64 v19, v24, v19, s0
	v_cmp_gt_f32_e64 s0, v20, v25
	v_add_f32_e32 v9, v12, v11
	v_mul_f32_e32 v21, v6, v18
	v_mul_f32_e32 v16, 0x40400000, v18
	v_mov_b32_dpp v30, v19 row_ror:4 row_mask:0xf bank_mask:0xf
	v_cndmask_b32_e64 v25, v25, v20, s0
	v_fma_f32 v1, v12, v4, -v1
	v_fmac_f32_e32 v23, v12, v10
	v_mul_f32_e32 v12, 4.0, v18
	v_mul_f32_e32 v29, v15, v4
	v_mul_f32_e32 v18, v18, v28
	v_mov_b32_dpp v32, v25 row_ror:4 row_mask:0xf bank_mask:0xf
	v_cmp_lt_f32_e64 s8, v19, v30
	v_fma_f32 v26, -v6, v4, v10
	v_div_scale_f32 v17, null, v2, v2, v21
	v_mul_f32_e32 v35, v6, v29
	v_mul_f32_e32 v29, v28, v4
	;; [unrolled: 1-line block ×3, first 2 shown]
	v_cndmask_b32_e64 v46, v30, v19, s8
	v_cmp_gt_f32_e64 s8, v25, v32
	v_sub_f32_e32 v22, v4, v6
	v_fma_f32 v13, v13, v4, -v14
	v_fmac_f32_e32 v26, v6, v6
	v_rcp_f32_e32 v34, v17
	v_div_scale_f32 v40, null, v2, v2, v35
	v_mul_f32_e32 v29, v6, v29
	v_cndmask_b32_e64 v32, v32, v25, s8
	v_mul_f32_e32 v6, v6, v18
	v_mov_b32_dpp v18, v46 row_ror:8 row_mask:0xf bank_mask:0xf
	v_mul_f32_e32 v15, 0x40c00000, v15
	v_mul_f32_e32 v13, v12, v13
	v_rcp_f32_e32 v48, v40
	v_mov_b32_dpp v51, v32 row_ror:8 row_mask:0xf bank_mask:0xf
	v_cmp_lt_f32_e64 s9, v46, v18
	v_mul_f32_e32 v11, v2, v2
	v_mul_f32_e32 v16, v16, v1
	;; [unrolled: 1-line block ×3, first 2 shown]
	v_div_scale_f32 v38, null, v2, v2, v13
	v_fma_f32 v47, -v17, v34, 1.0
	v_cndmask_b32_e64 v18, v18, v46, s9
	v_cmp_gt_f32_e64 s9, v32, v51
	v_div_scale_f32 v31, vcc_lo, v21, v2, v21
	v_div_scale_f32 v36, null, v2, v2, v16
	v_div_scale_f32 v43, null, v11, v11, v28
	v_rcp_f32_e32 v45, v38
	v_fmac_f32_e32 v34, v47, v34
	v_cndmask_b32_e64 v46, v51, v32, s9
	v_fma_f32 v51, -v40, v48, 1.0
	v_div_scale_f32 v41, s3, v35, v2, v35
	v_rcp_f32_e32 v42, v36
	v_rcp_f32_e32 v50, v43
	v_mul_f32_e32 v55, v31, v34
	v_fmac_f32_e32 v48, v51, v48
	v_mul_f32_e32 v49, v22, v29
	v_mul_f32_e32 v54, v26, v6
	v_fma_f32 v26, -v38, v45, 1.0
	v_fma_f32 v51, -v17, v55, v31
	v_mul_f32_e32 v58, v41, v48
	v_mul_f32_e32 v14, v2, v11
	v_div_scale_f32 v47, null, v11, v11, v49
	v_fma_f32 v53, -v36, v42, 1.0
	v_fma_f32 v59, -v43, v50, 1.0
	v_fmac_f32_e32 v45, v26, v45
	v_fmac_f32_e32 v55, v51, v34
	ds_swizzle_b32 v51, v18 offset:swizzle(BROADCAST,32,15)
	v_fma_f32 v26, -v40, v58, v41
	v_div_scale_f32 v37, s1, v16, v2, v16
	v_div_scale_f32 v39, s0, v13, v2, v13
	v_rcp_f32_e32 v57, v47
	v_fmac_f32_e32 v42, v53, v42
	v_div_scale_f32 v53, null, v14, v14, v54
	v_fmac_f32_e32 v50, v59, v50
	ds_swizzle_b32 v59, v46 offset:swizzle(BROADCAST,32,15)
	v_fma_f32 v17, -v17, v55, v31
	v_fmac_f32_e32 v58, v26, v48
	v_div_scale_f32 v44, s2, v28, v11, v28
	v_mul_f32_e32 v60, v37, v42
	v_rcp_f32_e32 v61, v53
	v_div_fmas_f32 v34, v17, v34, v55
	v_mul_f32_e32 v55, v39, v45
	v_fma_f32 v17, -v40, v58, v41
	s_mov_b32 vcc_lo, s3
	v_fma_f32 v31, -v47, v57, 1.0
	v_fma_f32 v26, -v36, v60, v37
	v_mul_f32_e32 v41, v44, v50
	v_div_fmas_f32 v40, v17, v48, v58
	v_fma_f32 v17, -v38, v55, v39
	v_div_scale_f32 v52, s8, v49, v11, v49
	v_fmac_f32_e32 v60, v26, v42
	v_fmac_f32_e32 v57, v31, v57
	v_fma_f32 v31, -v53, v61, 1.0
	v_fmac_f32_e32 v55, v17, v45
	v_fma_f32 v17, -v43, v41, v44
	s_waitcnt lgkmcnt(1)
	v_cmp_lt_f32_e32 vcc_lo, v18, v51
	v_fma_f32 v36, -v36, v60, v37
	v_div_scale_f32 v37, s3, v54, v14, v54
	v_fmac_f32_e32 v61, v31, v61
	v_fmac_f32_e32 v41, v17, v50
	v_fma_f32 v38, -v38, v55, v39
	v_mul_f32_e32 v39, v52, v57
	v_cndmask_b32_e32 v17, v51, v18, vcc_lo
	s_waitcnt lgkmcnt(0)
	v_cmp_gt_f32_e32 vcc_lo, v46, v59
	v_div_fixup_f32 v34, v34, v2, v21
	v_mul_f32_e32 v58, v37, v61
	v_div_fixup_f32 v35, v40, v2, v35
	v_mov_b32_dpp v10, v2 quad_perm:[2,3,0,1] row_mask:0xf bank_mask:0xf
	v_cndmask_b32_e32 v18, v59, v46, vcc_lo
	v_fma_f32 v46, -v47, v39, v52
	s_mov_b32 vcc_lo, s8
	v_add_f32_e32 v9, v9, v35
	v_fma_f32 v43, -v43, v41, v44
	v_add_f32_e32 v1, v2, v10
	v_fmac_f32_e32 v39, v46, v57
	v_add_f32_e32 v46, v34, v3
	v_fma_f32 v34, -v53, v58, v37
	v_mul_f32_e32 v27, v10, v10
	v_mul_f32_e32 v12, v1, v1
	v_fma_f32 v47, -v47, v39, v52
	v_mov_b32_dpp v52, v46 quad_perm:[2,3,0,1] row_mask:0xf bank_mask:0xf
	v_fmac_f32_e32 v58, v34, v61
	v_fma_f32 v24, -v2, v10, v27
	v_sub_f32_e32 v20, v10, v2
	v_div_fmas_f32 v39, v47, v57, v39
	s_mov_b32 vcc_lo, s1
	v_fma_f32 v35, -v53, v58, v37
	v_sub_f32_e32 v37, v46, v52
	v_div_fmas_f32 v36, v36, v42, v60
	s_mov_b32 vcc_lo, s3
	v_div_fixup_f32 v39, v39, v11, v49
	v_div_fmas_f32 v35, v35, v61, v58
	v_mul_f32_e32 v46, v37, v37
	v_mul_f32_e32 v49, v2, v37
	s_mov_b32 vcc_lo, s2
	v_div_fixup_f32 v16, v36, v2, v16
	v_div_fmas_f32 v36, v43, v50, v41
	s_mov_b32 vcc_lo, s0
	v_mov_b32_dpp v42, v9 quad_perm:[2,3,0,1] row_mask:0xf bank_mask:0xf
	v_div_fmas_f32 v38, v38, v45, v55
	v_add_f32_e32 v8, v8, v39
	v_div_fixup_f32 v14, v35, v14, v54
	v_div_scale_f32 v39, null, v1, v1, v49
	v_mul_f32_e32 v45, v46, v10
	v_mul_f32_e32 v35, v37, v46
	v_add_f32_e32 v43, v9, v42
	v_mul_f32_e32 v50, v2, v42
	v_mul_f32_e32 v42, v11, v42
	v_div_fixup_f32 v11, v36, v11, v28
	v_add_f32_e32 v8, v16, v8
	v_add_f32_e32 v7, v7, v14
	v_rcp_f32_e32 v16, v39
	v_mul_f32_e32 v28, v2, v45
	v_mul_f32_e32 v46, 0x40c00000, v46
	v_div_fixup_f32 v13, v38, v2, v13
	v_mul_f32_e32 v14, v37, v35
	v_fmac_f32_e32 v42, v27, v9
	v_add_f32_e32 v7, v11, v7
	v_div_scale_f32 v11, null, v1, v1, v28
	v_mul_f32_e32 v53, 0x40400000, v37
	v_mul_f32_e32 v57, 4.0, v37
	v_mul_f32_e32 v35, v35, v10
	v_fma_f32 v36, v9, v10, -v50
	v_mov_b32_dpp v9, v8 quad_perm:[2,3,0,1] row_mask:0xf bank_mask:0xf
	v_mul_f32_e32 v14, v14, v10
	v_mul_f32_e32 v37, v46, v42
	v_add_f32_e32 v7, v13, v7
	v_fma_f32 v13, -v39, v16, 1.0
	v_rcp_f32_e32 v38, v11
	v_fmac_f32_e32 v24, v2, v2
	v_div_scale_f32 v41, vcc_lo, v49, v1, v49
	v_mul_f32_e32 v35, v2, v35
	v_mul_f32_e32 v36, v53, v36
	;; [unrolled: 1-line block ×3, first 2 shown]
	v_div_scale_f32 v46, null, v12, v12, v37
	v_mul_f32_e32 v2, v2, v9
	v_fmac_f32_e32 v16, v13, v16
	v_add_f32_e32 v42, v8, v9
	v_mul_f32_e32 v20, v20, v35
	v_div_scale_f32 v35, null, v1, v1, v36
	v_mul_f32_e32 v14, v24, v14
	v_rcp_f32_e32 v24, v46
	v_fma_f32 v2, v8, v10, -v2
	v_mul_f32_e32 v8, v41, v16
	v_fma_f32 v10, -v11, v38, 1.0
	v_mul_f32_e32 v23, v1, v12
	v_div_scale_f32 v27, s0, v28, v1, v28
	v_mov_b32_dpp v9, v7 quad_perm:[2,3,0,1] row_mask:0xf bank_mask:0xf
	v_div_scale_f32 v13, null, v12, v12, v20
	v_rcp_f32_e32 v54, v35
	v_mul_f32_e32 v2, v57, v2
	v_fma_f32 v57, -v39, v8, v41
	v_fmac_f32_e32 v38, v10, v38
	v_rcp_f32_e32 v55, v13
	v_add_f32_e32 v7, v7, v9
	v_div_scale_f32 v9, null, v23, v23, v14
	v_fma_f32 v59, -v46, v24, 1.0
	v_fmac_f32_e32 v8, v57, v16
	v_mul_f32_e32 v57, v27, v38
	v_fma_f32 v10, -v35, v54, 1.0
	v_rcp_f32_e32 v58, v9
	v_fmac_f32_e32 v24, v59, v24
	v_fma_f32 v39, -v39, v8, v41
	v_fma_f32 v41, -v11, v57, v27
	v_div_scale_f32 v59, null, v1, v1, v2
	v_div_scale_f32 v45, s1, v36, v1, v36
	v_div_scale_f32 v50, s2, v37, v12, v37
	v_fmac_f32_e32 v54, v10, v54
	v_fma_f32 v10, -v13, v55, 1.0
	v_fmac_f32_e32 v57, v41, v38
	v_rcp_f32_e32 v41, v59
	v_div_scale_f32 v53, s3, v20, v12, v20
	v_fmac_f32_e32 v55, v10, v55
	v_div_fmas_f32 v8, v39, v16, v8
	v_mul_f32_e32 v16, v45, v54
	v_fma_f32 v11, -v11, v57, v27
	v_fma_f32 v27, -v9, v58, 1.0
	v_mul_f32_e32 v39, v50, v24
	s_mov_b32 vcc_lo, s0
	v_div_scale_f32 v10, s8, v14, v23, v14
	v_div_fmas_f32 v11, v11, v38, v57
	v_mul_f32_e32 v38, v53, v55
	v_fma_f32 v57, -v35, v16, v45
	v_fmac_f32_e32 v58, v27, v58
	v_fma_f32 v27, -v46, v39, v50
	v_div_fixup_f32 v8, v8, v1, v49
	v_fma_f32 v49, -v59, v41, 1.0
	v_fmac_f32_e32 v16, v57, v54
	v_fma_f32 v57, -v13, v38, v53
	v_fmac_f32_e32 v39, v27, v24
	v_mul_f32_e32 v27, v10, v58
	v_fmac_f32_e32 v41, v49, v41
	v_div_scale_f32 v49, s0, v2, v1, v2
	v_add_f32_e32 v8, v8, v52
	v_fmac_f32_e32 v38, v57, v55
	v_fma_f32 v35, -v35, v16, v45
	v_fma_f32 v45, -v9, v27, v10
	v_mul_f32_e32 v52, v49, v41
	v_div_fixup_f32 v11, v11, v1, v28
	v_fma_f32 v13, -v13, v38, v53
	s_mov_b32 vcc_lo, s3
	v_fmac_f32_e32 v27, v45, v58
	v_fma_f32 v28, -v59, v52, v49
	v_mov_b32_dpp v45, v8 row_ror:4 row_mask:0xf bank_mask:0xf
	v_mov_b32_dpp v15, v1 row_ror:4 row_mask:0xf bank_mask:0xf
	v_add_f32_e32 v11, v43, v11
	v_div_fmas_f32 v13, v13, v55, v38
	v_fma_f32 v9, -v9, v27, v10
	v_fmac_f32_e32 v52, v28, v41
	v_sub_f32_e32 v8, v8, v45
	s_mov_b32 vcc_lo, s1
	v_fma_f32 v46, -v46, v39, v50
	v_div_fmas_f32 v10, v35, v54, v16
	s_mov_b32 vcc_lo, s8
	v_add_f32_e32 v4, v1, v15
	v_div_fixup_f32 v13, v13, v12, v20
	v_div_fmas_f32 v9, v9, v58, v27
	v_fma_f32 v16, -v59, v52, v49
	v_mov_b32_dpp v20, v11 row_ror:4 row_mask:0xf bank_mask:0xf
	v_mul_f32_e32 v27, v8, v8
	v_mul_f32_e32 v28, v1, v8
	s_mov_b32 vcc_lo, s2
	v_div_fixup_f32 v10, v10, v1, v36
	v_div_fmas_f32 v24, v46, v24, v39
	s_mov_b32 vcc_lo, s0
	v_add_f32_e32 v13, v42, v13
	v_div_fixup_f32 v9, v9, v23, v14
	v_div_fmas_f32 v14, v16, v41, v52
	v_mul_f32_e32 v16, v8, v27
	v_div_scale_f32 v23, null, v4, v4, v28
	v_mul_f32_e32 v41, v27, v15
	v_mul_f32_e32 v42, v1, v20
	;; [unrolled: 1-line block ×4, first 2 shown]
	v_mul_f32_e32 v38, 4.0, v8
	v_add_f32_e32 v39, v11, v20
	v_mul_f32_e32 v20, v12, v20
	v_div_fixup_f32 v12, v24, v12, v37
	v_add_f32_e32 v10, v10, v13
	v_add_f32_e32 v7, v7, v9
	v_div_fixup_f32 v2, v14, v1, v2
	v_mul_f32_e32 v8, v8, v16
	v_rcp_f32_e32 v9, v23
	v_mul_f32_e32 v13, v1, v41
	v_mul_f32_e32 v14, v16, v15
	v_fma_f32 v16, v11, v15, -v42
	v_sub_f32_e32 v25, v15, v1
	v_fma_f32 v30, -v1, v15, v33
	v_mul_f32_e32 v27, 0x40c00000, v27
	v_fmac_f32_e32 v20, v33, v11
	v_add_f32_e32 v7, v12, v7
	v_mov_b32_dpp v11, v10 row_ror:4 row_mask:0xf bank_mask:0xf
	v_div_scale_f32 v12, null, v4, v4, v13
	v_mul_f32_e32 v14, v1, v14
	v_mul_f32_e32 v16, v35, v16
	;; [unrolled: 1-line block ×4, first 2 shown]
	v_fmac_f32_e32 v30, v1, v1
	v_mul_f32_e32 v20, v27, v20
	v_add_f32_e32 v2, v2, v7
	v_fma_f32 v7, -v23, v9, 1.0
	v_rcp_f32_e32 v27, v12
	v_mul_f32_e32 v14, v25, v14
	v_div_scale_f32 v25, null, v4, v4, v16
	v_mul_f32_e32 v8, v1, v8
	v_mul_f32_e32 v1, v1, v11
	;; [unrolled: 1-line block ×3, first 2 shown]
	v_div_scale_f32 v36, vcc_lo, v28, v4, v28
	v_add_f32_e32 v33, v10, v11
	v_div_scale_f32 v37, null, v19, v19, v20
	v_mov_b32_dpp v11, v2 row_ror:4 row_mask:0xf bank_mask:0xf
	v_fmac_f32_e32 v9, v7, v9
	v_div_scale_f32 v7, null, v19, v19, v14
	v_rcp_f32_e32 v43, v25
	v_mul_f32_e32 v8, v30, v8
	v_fma_f32 v1, v10, v15, -v1
	v_rcp_f32_e32 v30, v37
	v_mul_f32_e32 v10, v36, v9
	v_fma_f32 v15, -v12, v27, 1.0
	v_rcp_f32_e32 v46, v7
	v_add_f32_e32 v2, v2, v11
	v_div_scale_f32 v11, null, v29, v29, v8
	v_mul_f32_e32 v1, v38, v1
	v_div_scale_f32 v24, s0, v13, v4, v13
	v_fma_f32 v38, -v23, v10, v36
	v_fmac_f32_e32 v27, v15, v27
	v_fma_f32 v15, -v25, v43, 1.0
	v_rcp_f32_e32 v50, v11
	v_div_scale_f32 v53, null, v4, v4, v1
	v_div_scale_f32 v35, s1, v16, v4, v16
	v_fma_f32 v52, -v37, v30, 1.0
	v_fmac_f32_e32 v10, v38, v9
	v_mul_f32_e32 v38, v24, v27
	v_fma_f32 v55, -v7, v46, 1.0
	v_fmac_f32_e32 v43, v15, v43
	v_rcp_f32_e32 v15, v53
	v_div_scale_f32 v42, s3, v14, v19, v14
	v_fmac_f32_e32 v30, v52, v30
	v_fma_f32 v23, -v23, v10, v36
	v_fma_f32 v36, -v12, v38, v24
	v_fmac_f32_e32 v46, v55, v46
	v_mul_f32_e32 v52, v35, v43
	v_fma_f32 v55, -v11, v50, 1.0
	v_div_scale_f32 v49, s8, v8, v29, v8
	v_div_fmas_f32 v9, v23, v9, v10
	v_fmac_f32_e32 v38, v36, v27
	v_mul_f32_e32 v10, v42, v46
	v_fma_f32 v23, -v25, v52, v35
	v_fmac_f32_e32 v50, v55, v50
	v_fma_f32 v55, -v53, v15, 1.0
	v_div_scale_f32 v41, s2, v20, v19, v20
	v_div_scale_f32 v54, s9, v1, v4, v1
	v_div_fixup_f32 v9, v9, v4, v28
	v_fma_f32 v12, -v12, v38, v24
	v_fma_f32 v24, -v7, v10, v42
	v_fmac_f32_e32 v52, v23, v43
	v_mul_f32_e32 v23, v49, v50
	v_fmac_f32_e32 v15, v55, v15
	v_mul_f32_e32 v57, v41, v30
	s_mov_b32 vcc_lo, s0
	v_add_f32_e32 v9, v9, v45
	v_div_fmas_f32 v12, v12, v27, v38
	v_fmac_f32_e32 v10, v24, v46
	v_fma_f32 v24, -v25, v52, v35
	v_fma_f32 v25, -v11, v23, v49
	v_mul_f32_e32 v27, v54, v15
	v_fma_f32 v36, -v37, v57, v41
	v_div_fixup_f32 v12, v12, v4, v13
	v_fma_f32 v7, -v7, v10, v42
	v_fmac_f32_e32 v23, v25, v50
	v_fma_f32 v13, -v53, v27, v54
	v_mov_b32_dpp v25, v9 row_ror:8 row_mask:0xf bank_mask:0xf
	v_fmac_f32_e32 v57, v36, v30
	s_mov_b32 vcc_lo, s3
	v_mov_b32_dpp v22, v4 row_ror:8 row_mask:0xf bank_mask:0xf
	v_add_f32_e32 v12, v39, v12
	v_div_fmas_f32 v7, v7, v46, v10
	v_fma_f32 v10, -v11, v23, v49
	v_fmac_f32_e32 v27, v13, v15
	v_sub_f32_e32 v9, v9, v25
	s_mov_b32 vcc_lo, s1
	v_fma_f32 v28, -v37, v57, v41
	v_div_fmas_f32 v11, v24, v43, v52
	s_mov_b32 vcc_lo, s8
	v_add_f32_e32 v6, v4, v22
	v_div_fixup_f32 v7, v7, v19, v14
	v_div_fmas_f32 v10, v10, v50, v23
	v_fma_f32 v13, -v53, v27, v54
	v_mov_b32_dpp v14, v12 row_ror:8 row_mask:0xf bank_mask:0xf
	v_mul_f32_e32 v23, v9, v9
	v_mul_f32_e32 v24, v4, v9
	s_mov_b32 vcc_lo, s2
	v_div_fixup_f32 v11, v11, v4, v16
	v_div_fmas_f32 v16, v28, v30, v57
	s_mov_b32 vcc_lo, s9
	v_add_f32_e32 v7, v33, v7
	v_div_fixup_f32 v8, v10, v29, v8
	v_div_fmas_f32 v10, v13, v15, v27
	v_mul_f32_e32 v13, v9, v23
	v_div_scale_f32 v15, null, v6, v6, v24
	v_mul_f32_e32 v29, v23, v22
	v_mul_f32_e32 v30, v4, v14
	;; [unrolled: 1-line block ×4, first 2 shown]
	v_mul_f32_e32 v36, 4.0, v9
	v_add_f32_e32 v28, v12, v14
	v_mul_f32_e32 v14, v19, v14
	v_div_fixup_f32 v16, v16, v19, v20
	v_add_f32_e32 v7, v11, v7
	v_add_f32_e32 v2, v2, v8
	v_div_fixup_f32 v1, v10, v4, v1
	v_mul_f32_e32 v8, v9, v13
	v_rcp_f32_e32 v9, v15
	v_mul_f32_e32 v10, v4, v29
	v_mul_f32_e32 v11, v13, v22
	v_fma_f32 v13, v12, v22, -v30
	v_sub_f32_e32 v32, v22, v4
	v_fma_f32 v48, -v4, v22, v56
	v_mul_f32_e32 v23, 0x40c00000, v23
	v_fmac_f32_e32 v14, v56, v12
	v_add_f32_e32 v2, v16, v2
	v_div_scale_f32 v16, null, v6, v6, v10
	v_mul_f32_e32 v11, v4, v11
	v_mul_f32_e32 v13, v35, v13
	;; [unrolled: 1-line block ×4, first 2 shown]
	v_fmac_f32_e32 v48, v4, v4
	v_mov_b32_dpp v12, v7 row_ror:8 row_mask:0xf bank_mask:0xf
	v_mul_f32_e32 v14, v23, v14
	v_add_f32_e32 v1, v1, v2
	v_fma_f32 v2, -v15, v9, 1.0
	v_rcp_f32_e32 v20, v16
	v_mul_f32_e32 v11, v32, v11
	v_div_scale_f32 v29, null, v6, v6, v13
	v_mul_f32_e32 v8, v4, v8
	v_mul_f32_e32 v51, v6, v31
	v_div_scale_f32 v27, vcc_lo, v24, v6, v24
	v_add_f32_e32 v23, v7, v12
	v_div_scale_f32 v32, null, v31, v31, v14
	v_mul_f32_e32 v4, v4, v12
	v_mov_b32_dpp v12, v1 row_ror:8 row_mask:0xf bank_mask:0xf
	v_fmac_f32_e32 v9, v2, v9
	v_div_scale_f32 v2, null, v31, v31, v11
	v_rcp_f32_e32 v37, v29
	v_mul_f32_e32 v8, v48, v8
	v_rcp_f32_e32 v38, v32
	v_fma_f32 v4, v7, v22, -v4
	v_mul_f32_e32 v7, v27, v9
	v_fma_f32 v22, -v16, v20, 1.0
	v_rcp_f32_e32 v39, v2
	v_add_f32_e32 v1, v1, v12
	v_div_scale_f32 v12, null, v51, v51, v8
	v_div_scale_f32 v19, s0, v10, v6, v10
	v_mul_f32_e32 v4, v36, v4
	v_fma_f32 v36, -v15, v7, v27
	v_fmac_f32_e32 v20, v22, v20
	v_fma_f32 v22, -v29, v37, 1.0
	v_rcp_f32_e32 v42, v12
	v_div_scale_f32 v30, s1, v13, v6, v13
	v_fma_f32 v43, -v32, v38, 1.0
	v_div_scale_f32 v45, null, v6, v6, v4
	v_fmac_f32_e32 v7, v36, v9
	v_mul_f32_e32 v36, v19, v20
	v_fma_f32 v48, -v2, v39, 1.0
	v_fmac_f32_e32 v37, v22, v37
	v_div_scale_f32 v35, s3, v11, v31, v11
	v_fmac_f32_e32 v38, v43, v38
	v_rcp_f32_e32 v22, v45
	v_fma_f32 v15, -v15, v7, v27
	v_fma_f32 v27, -v16, v36, v19
	v_fmac_f32_e32 v39, v48, v39
	v_mul_f32_e32 v43, v30, v37
	v_fma_f32 v48, -v12, v42, 1.0
	v_div_scale_f32 v41, s8, v8, v51, v8
	v_div_fmas_f32 v7, v15, v9, v7
	v_fmac_f32_e32 v36, v27, v20
	v_mul_f32_e32 v9, v35, v39
	v_fma_f32 v15, -v29, v43, v30
	v_fmac_f32_e32 v42, v48, v42
	v_div_scale_f32 v33, s2, v14, v31, v14
	v_fma_f32 v48, -v45, v22, 1.0
	v_div_fixup_f32 v7, v7, v6, v24
	v_fma_f32 v16, -v16, v36, v19
	v_fma_f32 v19, -v2, v9, v35
	v_fmac_f32_e32 v43, v15, v37
	v_mul_f32_e32 v15, v41, v42
	s_mov_b32 vcc_lo, s0
	v_div_scale_f32 v46, s9, v4, v6, v4
	v_mul_f32_e32 v49, v33, v38
	v_fmac_f32_e32 v22, v48, v22
	v_add_f32_e32 v7, v7, v25
	v_div_fmas_f32 v16, v16, v20, v36
	v_fmac_f32_e32 v9, v19, v39
	v_fma_f32 v20, -v12, v15, v41
	v_fma_f32 v27, -v32, v49, v33
	v_mul_f32_e32 v24, v46, v22
	v_fma_f32 v19, -v29, v43, v30
	v_fma_f32 v2, -v2, v9, v35
	v_fmac_f32_e32 v15, v20, v42
	ds_swizzle_b32 v20, v7 offset:swizzle(BROADCAST,32,15)
	s_mov_b32 vcc_lo, s3
	ds_swizzle_b32 v26, v6 offset:swizzle(BROADCAST,32,15)
	v_fmac_f32_e32 v49, v27, v38
	v_div_fixup_f32 v10, v16, v6, v10
	v_fma_f32 v16, -v45, v24, v46
	v_div_fmas_f32 v2, v2, v39, v9
	v_fma_f32 v9, -v12, v15, v41
	s_mov_b32 vcc_lo, s1
	v_fma_f32 v25, -v32, v49, v33
	v_div_fmas_f32 v12, v19, v37, v43
	s_mov_b32 vcc_lo, s8
	v_add_f32_e32 v10, v28, v10
	v_fmac_f32_e32 v24, v16, v22
	v_div_fmas_f32 v9, v9, v42, v15
	s_mov_b32 vcc_lo, s2
	v_div_fixup_f32 v2, v2, v31, v11
	ds_swizzle_b32 v15, v10 offset:swizzle(BROADCAST,32,15)
	v_fma_f32 v11, -v45, v24, v46
	v_div_fixup_f32 v12, v12, v6, v13
	v_div_fmas_f32 v13, v25, v38, v49
	v_div_fixup_f32 v8, v9, v51, v8
	s_mov_b32 vcc_lo, s9
	v_add_f32_e32 v2, v23, v2
	v_div_fmas_f32 v9, v11, v22, v24
	v_div_fixup_f32 v11, v13, v31, v14
	v_add_f32_e32 v1, v1, v8
	s_waitcnt lgkmcnt(2)
	v_sub_f32_e32 v7, v7, v20
	s_waitcnt lgkmcnt(1)
	v_add_f32_e32 v21, v6, v26
	v_add_f32_e32 v2, v12, v2
	v_div_fixup_f32 v4, v9, v6, v4
	v_add_f32_e32 v1, v11, v1
	v_mul_f32_e32 v9, v7, v7
	v_mul_f32_e32 v11, v6, v7
	ds_swizzle_b32 v8, v2 offset:swizzle(BROADCAST,32,15)
	v_mul_f32_e32 v40, v26, v26
	v_add_f32_e32 v1, v4, v1
	v_mul_f32_e32 v4, v7, v9
	v_div_scale_f32 v14, null, v21, v21, v11
	v_mul_f32_e32 v12, 0x40400000, v7
	v_mul_f32_e32 v13, 4.0, v7
	v_mul_f32_e32 v19, v9, v26
	s_waitcnt lgkmcnt(1)
	v_mul_f32_e32 v22, v6, v15
	v_mul_f32_e32 v7, v7, v4
	v_rcp_f32_e32 v25, v14
	v_mul_f32_e32 v4, v4, v26
	v_sub_f32_e32 v44, v26, v6
	v_fma_f32 v47, -v6, v26, v40
	v_mul_f32_e32 v23, v31, v15
	v_mul_f32_e32 v19, v6, v19
	v_fma_f32 v22, v10, v26, -v22
	v_mul_f32_e32 v4, v6, v4
	v_mul_f32_e32 v7, v7, v26
	;; [unrolled: 1-line block ×3, first 2 shown]
	v_fmac_f32_e32 v47, v6, v6
	v_mul_f32_e32 v9, 0x40c00000, v9
	v_fmac_f32_e32 v23, v40, v10
	v_div_scale_f32 v27, null, v21, v21, v19
	v_mul_f32_e32 v12, v12, v22
	v_fma_f32 v22, -v14, v25, 1.0
	v_mul_f32_e32 v4, v44, v4
	v_mul_f32_e32 v7, v6, v7
	;; [unrolled: 1-line block ×3, first 2 shown]
	v_div_scale_f32 v16, vcc_lo, v11, v21, v11
	v_mul_f32_e32 v9, v9, v23
	v_rcp_f32_e32 v23, v27
	v_div_scale_f32 v29, null, v21, v21, v12
	s_waitcnt lgkmcnt(0)
	v_mul_f32_e32 v6, v6, v8
	v_fmac_f32_e32 v25, v22, v25
	v_div_scale_f32 v22, null, v3, v3, v4
	v_mul_f32_e32 v7, v47, v7
	v_div_scale_f32 v31, null, v3, v3, v9
	v_rcp_f32_e32 v33, v29
	v_fma_f32 v6, v2, v26, -v6
	v_mul_f32_e32 v26, v16, v25
	v_rcp_f32_e32 v37, v22
	v_div_scale_f32 v38, null, v34, v34, v7
	v_rcp_f32_e32 v35, v31
	v_fma_f32 v36, -v27, v23, 1.0
	v_mul_f32_e32 v6, v13, v6
	v_fma_f32 v13, -v14, v26, v16
	v_rcp_f32_e32 v40, v38
	v_div_scale_f32 v28, s0, v19, v21, v19
	v_fmac_f32_e32 v23, v36, v23
	v_fma_f32 v36, -v29, v33, 1.0
	v_fmac_f32_e32 v26, v13, v25
	v_fma_f32 v13, -v22, v37, 1.0
	v_div_scale_f32 v30, s1, v12, v21, v12
	v_div_scale_f32 v32, s2, v4, v3, v4
	v_fma_f32 v41, -v31, v35, 1.0
	v_div_scale_f32 v42, null, v21, v21, v6
	v_mul_f32_e32 v43, v28, v23
	v_fmac_f32_e32 v33, v36, v33
	v_fmac_f32_e32 v37, v13, v37
	v_fma_f32 v13, -v38, v40, 1.0
	v_div_scale_f32 v39, s3, v7, v34, v7
	v_fmac_f32_e32 v35, v41, v35
	v_rcp_f32_e32 v36, v42
	v_fma_f32 v14, -v14, v26, v16
	v_fma_f32 v16, -v27, v43, v28
	v_mul_f32_e32 v41, v30, v33
	v_mul_f32_e32 v44, v32, v37
	v_fmac_f32_e32 v40, v13, v40
	v_div_fmas_f32 v13, v14, v25, v26
	v_fmac_f32_e32 v43, v16, v23
	v_fma_f32 v14, -v29, v41, v30
	v_fma_f32 v16, -v22, v44, v32
	v_mul_f32_e32 v25, v39, v40
	v_fma_f32 v26, -v42, v36, 1.0
	ds_swizzle_b32 v24, v1 offset:swizzle(BROADCAST,32,15)
	v_fmac_f32_e32 v41, v14, v33
	v_fmac_f32_e32 v44, v16, v37
	v_fma_f32 v14, -v38, v25, v39
	v_div_scale_f32 v16, s8, v9, v3, v9
	v_div_fixup_f32 v11, v13, v21, v11
	v_fma_f32 v13, -v27, v43, v28
	s_mov_b32 vcc_lo, s0
	v_fmac_f32_e32 v25, v14, v40
	v_mul_f32_e32 v14, v16, v35
	v_fmac_f32_e32 v36, v26, v36
	v_div_scale_f32 v26, s0, v6, v21, v6
	v_div_fmas_f32 v13, v13, v23, v43
	v_fma_f32 v23, -v29, v41, v30
	v_fma_f32 v27, -v31, v14, v16
	v_mul_f32_e32 v29, v26, v36
	v_fma_f32 v22, -v22, v44, v32
	s_mov_b32 vcc_lo, s2
	v_fma_f32 v28, -v38, v25, v39
	v_fmac_f32_e32 v14, v27, v35
	v_fma_f32 v27, -v42, v29, v26
	v_div_fmas_f32 v22, v22, v37, v44
	s_mov_b32 vcc_lo, s1
	v_add_f32_e32 v10, v10, v15
	v_div_fmas_f32 v23, v23, v33, v41
	s_mov_b32 vcc_lo, s3
	v_fma_f32 v15, -v31, v14, v16
	v_div_fmas_f32 v25, v28, v40, v25
	v_fmac_f32_e32 v29, v27, v36
	s_mov_b32 vcc_lo, s8
	s_waitcnt lgkmcnt(0)
	v_add_f32_e32 v1, v1, v24
	v_div_fmas_f32 v14, v15, v35, v14
	v_div_fixup_f32 v7, v25, v34, v7
	v_add_f32_e32 v2, v2, v8
	v_fma_f32 v8, -v42, v29, v26
	s_mov_b32 vcc_lo, s0
	v_div_fixup_f32 v4, v22, v3, v4
	v_add_f32_e32 v1, v1, v7
	v_div_fixup_f32 v3, v14, v3, v9
	v_div_fmas_f32 v7, v8, v36, v29
	v_div_fixup_f32 v8, v13, v21, v19
	v_add_f32_e32 v2, v2, v4
	v_div_fixup_f32 v4, v23, v21, v12
	v_add_f32_e32 v1, v3, v1
	v_div_fixup_f32 v3, v7, v21, v6
	v_mov_b32_e32 v6, 0
	v_add_f32_e32 v7, v11, v20
	v_add_f32_e32 v8, v10, v8
	v_add_f32_e32 v10, v4, v2
	v_add_f32_e32 v11, v3, v1
	ds_bpermute_b32 v1, v6, v21 offset:124
	ds_bpermute_b32 v2, v6, v17 offset:124
	ds_bpermute_b32 v3, v6, v18 offset:124
	ds_bpermute_b32 v4, v6, v7 offset:124
	ds_bpermute_b32 v9, v6, v8 offset:124
	ds_bpermute_b32 v10, v6, v10 offset:124
	ds_bpermute_b32 v11, v6, v11 offset:124
	s_mov_b32 s0, exec_lo
	v_cmpx_eq_u32_e32 0, v5
	s_cbranch_execz .LBB17_94
; %bb.93:
	v_lshrrev_b32_e32 v6, 5, v0
	v_mul_u32_u24_e32 v6, 28, v6
	s_waitcnt lgkmcnt(5)
	ds_write2_b32 v6, v1, v2 offset0:56 offset1:57
	s_waitcnt lgkmcnt(4)
	ds_write2_b32 v6, v3, v4 offset0:58 offset1:59
	;; [unrolled: 2-line block ×3, first 2 shown]
	s_waitcnt lgkmcnt(3)
	ds_write_b32 v6, v11 offset:248
.LBB17_94:
	s_or_b32 exec_lo, exec_lo, s0
	s_mov_b32 s8, exec_lo
	s_waitcnt lgkmcnt(0)
	s_barrier
	buffer_gl0_inv
	v_cmpx_gt_u32_e32 32, v0
	s_cbranch_execz .LBB17_96
; %bb.95:
	v_and_b32_e32 v8, 7, v5
	v_lshlrev_b32_e32 v17, 2, v5
	v_mul_u32_u24_e32 v9, 28, v8
	v_cmp_ne_u32_e32 vcc_lo, 7, v8
	v_or_b32_e32 v17, 16, v17
	ds_read2_b32 v[1:2], v9 offset0:56 offset1:57
	ds_read2_b32 v[3:4], v9 offset0:58 offset1:59
	;; [unrolled: 1-line block ×3, first 2 shown]
	v_add_co_ci_u32_e64 v10, null, 0, v5, vcc_lo
	v_cmp_gt_u32_e32 vcc_lo, 6, v8
	ds_read_b32 v9, v9 offset:248
	v_lshlrev_b32_e32 v10, 2, v10
	v_cndmask_b32_e64 v8, 0, 2, vcc_lo
	v_add_lshl_u32 v8, v8, v5, 2
	s_waitcnt lgkmcnt(3)
	ds_bpermute_b32 v13, v10, v2
	s_waitcnt lgkmcnt(3)
	ds_bpermute_b32 v12, v10, v4
	ds_bpermute_b32 v14, v10, v3
	;; [unrolled: 1-line block ×3, first 2 shown]
	s_waitcnt lgkmcnt(5)
	ds_bpermute_b32 v15, v10, v6
	ds_bpermute_b32 v16, v10, v7
	v_mul_f32_e32 v18, v1, v1
	s_waitcnt lgkmcnt(6)
	ds_bpermute_b32 v10, v10, v9
	s_waitcnt lgkmcnt(6)
	v_cmp_gt_f32_e32 vcc_lo, v2, v13
	s_waitcnt lgkmcnt(5)
	v_sub_f32_e32 v12, v12, v4
	s_waitcnt lgkmcnt(3)
	v_add_f32_e32 v19, v1, v11
	v_mul_f32_e32 v21, v6, v11
	v_cndmask_b32_e32 v2, v2, v13, vcc_lo
	v_cmp_lt_f32_e32 vcc_lo, v3, v14
	v_fma_f32 v22, -v1, v11, v18
	v_mul_f32_e32 v23, v11, v11
	s_waitcnt lgkmcnt(2)
	v_mul_f32_e32 v18, v18, v15
	v_mul_f32_e32 v25, v12, v12
	v_cndmask_b32_e32 v3, v3, v14, vcc_lo
	s_waitcnt lgkmcnt(1)
	v_add_f32_e32 v14, v7, v16
	v_mul_f32_e32 v7, v7, v11
	v_mul_f32_e32 v26, v12, v11
	v_add_f32_e32 v13, v6, v15
	v_fma_f32 v15, v1, v15, -v21
	v_fmac_f32_e32 v18, v6, v23
	v_mul_f32_e32 v6, 4.0, v12
	v_fma_f32 v7, v1, v16, -v7
	v_mul_f32_e32 v21, v12, v25
	v_div_scale_f32 v23, null, v19, v19, v26
	v_mul_f32_e32 v27, 0x40400000, v12
	v_mul_f32_e32 v29, v1, v25
	;; [unrolled: 1-line block ×4, first 2 shown]
	v_rcp_f32_e32 v12, v23
	v_mul_f32_e32 v15, v27, v15
	v_mul_f32_e32 v27, v29, v11
	;; [unrolled: 1-line block ×3, first 2 shown]
	v_sub_f32_e32 v20, v1, v11
	v_mul_f32_e32 v1, v1, v7
	v_mul_f32_e32 v24, v19, v19
	v_div_scale_f32 v31, null, v19, v19, v27
	v_mul_f32_e32 v21, v21, v11
	v_fma_f32 v34, -v23, v12, 1.0
	v_fmac_f32_e32 v22, v11, v11
	v_div_scale_f32 v28, vcc_lo, v26, v19, v26
	v_rcp_f32_e32 v7, v31
	v_mul_f32_e32 v20, v20, v21
	v_mul_f32_e32 v1, v1, v11
	v_fmac_f32_e32 v12, v34, v12
	v_div_scale_f32 v29, null, v19, v19, v15
	v_div_scale_f32 v35, null, v24, v24, v20
	v_mul_f32_e32 v1, v22, v1
	v_mul_f32_e32 v22, v28, v12
	v_fma_f32 v34, -v31, v7, 1.0
	v_rcp_f32_e32 v36, v35
	v_div_scale_f32 v32, s1, v27, v19, v27
	v_fma_f32 v39, -v23, v22, v28
	v_rcp_f32_e32 v33, v29
	v_fmac_f32_e32 v7, v34, v7
	v_mul_f32_e32 v16, v19, v24
	v_div_scale_f32 v37, s2, v20, v24, v20
	v_fmac_f32_e32 v22, v39, v12
	v_mul_f32_e32 v40, v32, v7
	v_fma_f32 v41, -v35, v36, 1.0
	v_mul_f32_e32 v25, 0x40c00000, v25
	v_div_scale_f32 v30, s0, v15, v19, v15
	v_fma_f32 v23, -v23, v22, v28
	v_fma_f32 v34, -v29, v33, 1.0
	v_fma_f32 v39, -v31, v40, v32
	v_fmac_f32_e32 v36, v41, v36
	v_div_scale_f32 v38, null, v16, v16, v1
	v_div_fmas_f32 v12, v23, v12, v22
	v_fmac_f32_e32 v33, v34, v33
	v_fmac_f32_e32 v40, v39, v7
	v_mul_f32_e32 v28, v37, v36
	v_mul_f32_e32 v18, v25, v18
	v_div_fixup_f32 v12, v12, v19, v26
	v_rcp_f32_e32 v34, v38
	v_mul_f32_e32 v22, v30, v33
	v_fma_f32 v31, -v31, v40, v32
	v_fma_f32 v32, -v35, v28, v37
	v_add_f32_e32 v4, v4, v12
	s_mov_b32 vcc_lo, s1
	v_div_scale_f32 v21, null, v24, v24, v18
	v_div_fmas_f32 v7, v31, v7, v40
	v_fmac_f32_e32 v28, v32, v36
	v_fma_f32 v26, -v29, v22, v30
	ds_bpermute_b32 v31, v8, v4
	v_div_scale_f32 v25, null, v19, v19, v6
	v_rcp_f32_e32 v11, v21
	v_fma_f32 v23, -v38, v34, 1.0
	v_fma_f32 v12, -v35, v28, v37
	v_fmac_f32_e32 v22, v26, v33
	ds_bpermute_b32 v26, v8, v19
	s_mov_b32 vcc_lo, s2
	v_div_scale_f32 v41, s3, v1, v16, v1
	v_fmac_f32_e32 v34, v23, v34
	v_div_fixup_f32 v7, v7, v19, v27
	v_rcp_f32_e32 v27, v25
	v_div_fmas_f32 v12, v12, v36, v28
	v_fma_f32 v23, -v21, v11, 1.0
	v_mul_f32_e32 v28, v41, v34
	s_mov_b32 vcc_lo, s0
	s_waitcnt lgkmcnt(2)
	v_add_f32_e32 v9, v9, v10
	v_div_fixup_f32 v12, v12, v24, v20
	v_fma_f32 v20, -v29, v22, v30
	v_fmac_f32_e32 v11, v23, v11
	v_div_scale_f32 v23, s1, v18, v24, v18
	v_fma_f32 v32, -v25, v27, 1.0
	v_fma_f32 v29, -v38, v28, v41
	v_div_fmas_f32 v20, v20, v33, v22
	s_waitcnt lgkmcnt(1)
	v_sub_f32_e32 v22, v31, v4
	v_mul_f32_e32 v30, v23, v11
	v_fmac_f32_e32 v27, v32, v27
	v_div_scale_f32 v32, s2, v6, v19, v6
	v_fmac_f32_e32 v28, v29, v34
	s_waitcnt lgkmcnt(0)
	v_add_f32_e32 v33, v19, v26
	v_mul_f32_e32 v35, v22, v26
	v_fma_f32 v29, -v21, v30, v23
	v_mul_f32_e32 v31, v32, v27
	v_fma_f32 v36, -v38, v28, v41
	s_mov_b32 vcc_lo, s3
	v_div_scale_f32 v37, null, v33, v33, v35
	v_fmac_f32_e32 v30, v29, v11
	v_fma_f32 v29, -v25, v31, v32
	v_div_fmas_f32 v28, v36, v34, v28
	v_rcp_f32_e32 v10, v37
	s_mov_b32 vcc_lo, s1
	v_fma_f32 v21, -v21, v30, v23
	v_fmac_f32_e32 v31, v29, v27
	v_div_fixup_f32 v1, v28, v16, v1
	v_add_f32_e32 v12, v14, v12
	v_div_fixup_f32 v15, v20, v19, v15
	v_div_fmas_f32 v11, v21, v11, v30
	v_fma_f32 v16, -v25, v31, v32
	v_add_f32_e32 v1, v9, v1
	v_fma_f32 v21, -v37, v10, 1.0
	v_mul_f32_e32 v9, v22, v22
	s_mov_b32 vcc_lo, s2
	v_div_fixup_f32 v11, v11, v24, v18
	v_div_fmas_f32 v16, v16, v27, v31
	v_fmac_f32_e32 v10, v21, v10
	v_div_scale_f32 v14, vcc_lo, v35, v33, v35
	v_mul_f32_e32 v18, v19, v9
	v_add_f32_e32 v1, v11, v1
	v_div_fixup_f32 v6, v16, v19, v6
	v_mul_f32_e32 v11, v14, v10
	v_add_f32_e32 v7, v13, v7
	v_mul_f32_e32 v13, v18, v26
	v_add_f32_e32 v12, v15, v12
	v_add_f32_e32 v1, v6, v1
	v_fma_f32 v6, -v37, v11, v14
	ds_bpermute_b32 v20, v8, v7
	v_div_scale_f32 v15, null, v33, v33, v13
	v_mul_f32_e32 v21, v22, v9
	v_fmac_f32_e32 v11, v6, v10
	ds_bpermute_b32 v16, v8, v2
	v_rcp_f32_e32 v6, v15
	v_mul_f32_e32 v30, 0x40400000, v22
	v_mul_f32_e32 v27, v19, v21
	v_fma_f32 v14, -v37, v11, v14
	v_mul_f32_e32 v21, v22, v21
	v_mul_f32_e32 v25, v33, v33
	ds_bpermute_b32 v23, v8, v12
	v_mul_f32_e32 v9, 0x40c00000, v9
	v_div_fmas_f32 v10, v14, v10, v11
	v_mul_f32_e32 v14, v27, v26
	v_fma_f32 v11, -v15, v6, 1.0
	v_sub_f32_e32 v27, v19, v26
	v_mul_f32_e32 v21, v19, v21
	v_div_fixup_f32 v10, v10, v33, v35
	v_mul_f32_e32 v28, v33, v25
	v_fmac_f32_e32 v6, v11, v6
	v_mul_f32_e32 v11, v27, v14
	v_mul_f32_e32 v14, v7, v26
	v_div_scale_f32 v27, vcc_lo, v13, v33, v13
	v_add_f32_e32 v4, v4, v10
	v_div_scale_f32 v29, null, v25, v25, v11
	s_waitcnt lgkmcnt(2)
	v_fma_f32 v14, v19, v20, -v14
	v_mul_f32_e32 v10, v27, v6
	s_waitcnt lgkmcnt(1)
	v_cmp_gt_f32_e64 s0, v2, v16
	v_mul_f32_e32 v21, v21, v26
	v_add_f32_e32 v34, v7, v20
	v_mul_f32_e32 v14, v30, v14
	v_fma_f32 v30, -v19, v26, v24
	v_fma_f32 v31, -v15, v10, v27
	v_cndmask_b32_e64 v2, v2, v16, s0
	v_rcp_f32_e32 v16, v29
	v_mul_f32_e32 v20, v24, v20
	v_fmac_f32_e32 v30, v26, v26
	v_fmac_f32_e32 v10, v31, v6
	v_div_scale_f32 v32, null, v33, v33, v14
	v_div_scale_f32 v24, s0, v11, v25, v11
	v_mul_f32_e32 v21, v30, v21
	v_fma_f32 v15, -v15, v10, v27
	v_mul_f32_e32 v27, v26, v26
	v_fma_f32 v31, -v29, v16, 1.0
	v_rcp_f32_e32 v35, v32
	v_div_scale_f32 v30, null, v28, v28, v21
	v_fmac_f32_e32 v20, v27, v7
	v_fmac_f32_e32 v16, v31, v16
	v_div_fmas_f32 v6, v15, v6, v10
	v_rcp_f32_e32 v36, v30
	v_mul_f32_e32 v26, v12, v26
	v_mul_f32_e32 v9, v9, v20
	;; [unrolled: 1-line block ×3, first 2 shown]
	v_fma_f32 v31, -v32, v35, 1.0
	v_mul_f32_e32 v22, 4.0, v22
	s_waitcnt lgkmcnt(0)
	v_fma_f32 v19, v19, v23, -v26
	v_div_scale_f32 v20, null, v25, v25, v9
	v_fma_f32 v27, -v29, v7, v24
	v_fma_f32 v15, -v30, v36, 1.0
	v_fmac_f32_e32 v35, v31, v35
	v_div_scale_f32 v10, s1, v14, v33, v14
	v_fmac_f32_e32 v7, v27, v16
	v_fmac_f32_e32 v36, v15, v36
	v_rcp_f32_e32 v15, v20
	v_mul_f32_e32 v19, v22, v19
	v_mul_f32_e32 v31, v10, v35
	v_div_scale_f32 v26, s2, v21, v28, v21
	v_fma_f32 v24, -v29, v7, v24
	v_div_scale_f32 v37, null, v33, v33, v19
	s_mov_b32 vcc_lo, s0
	v_add_f32_e32 v12, v12, v23
	v_fma_f32 v27, -v20, v15, 1.0
	v_fma_f32 v22, -v32, v31, v10
	v_mul_f32_e32 v23, v26, v36
	v_div_fmas_f32 v7, v24, v16, v7
	ds_bpermute_b32 v16, v17, v4
	v_fmac_f32_e32 v15, v27, v15
	v_rcp_f32_e32 v27, v37
	ds_bpermute_b32 v18, v8, v3
	ds_bpermute_b32 v8, v8, v1
	v_fmac_f32_e32 v31, v22, v35
	v_fma_f32 v22, -v30, v23, v26
	v_div_scale_f32 v29, s3, v9, v25, v9
	ds_bpermute_b32 v24, v17, v33
	v_fma_f32 v10, -v32, v31, v10
	v_fmac_f32_e32 v23, v22, v36
	v_mul_f32_e32 v22, v29, v15
	v_fma_f32 v32, -v37, v27, 1.0
	s_mov_b32 vcc_lo, s1
	v_div_fixup_f32 v7, v7, v25, v11
	v_div_fmas_f32 v10, v10, v35, v31
	v_fma_f32 v26, -v30, v23, v26
	v_fma_f32 v30, -v20, v22, v29
	v_fmac_f32_e32 v27, v32, v27
	v_div_scale_f32 v31, s0, v19, v33, v19
	s_mov_b32 vcc_lo, s2
	v_fmac_f32_e32 v22, v30, v15
	v_div_fmas_f32 v23, v26, v36, v23
	v_mul_f32_e32 v26, v31, v27
	s_waitcnt lgkmcnt(3)
	v_sub_f32_e32 v16, v16, v4
	s_waitcnt lgkmcnt(1)
	v_add_f32_e32 v8, v1, v8
	v_fma_f32 v20, -v20, v22, v29
	v_div_fixup_f32 v21, v23, v28, v21
	v_fma_f32 v23, -v37, v26, v31
	s_waitcnt lgkmcnt(0)
	v_add_f32_e32 v1, v33, v24
	v_mul_f32_e32 v28, v16, v24
	s_mov_b32 vcc_lo, s3
	v_add_f32_e32 v8, v8, v21
	v_div_fmas_f32 v15, v20, v15, v22
	v_fmac_f32_e32 v26, v23, v27
	v_div_scale_f32 v20, null, v1, v1, v28
	s_mov_b32 vcc_lo, s0
	v_div_fixup_f32 v9, v15, v25, v9
	v_fma_f32 v11, -v37, v26, v31
	v_rcp_f32_e32 v15, v20
	v_add_f32_e32 v7, v12, v7
	v_div_fixup_f32 v10, v10, v33, v14
	v_add_f32_e32 v8, v9, v8
	v_div_fmas_f32 v11, v11, v27, v26
	v_cmp_lt_f32_e32 vcc_lo, v3, v18
	v_div_fixup_f32 v6, v6, v33, v13
	v_add_f32_e32 v7, v10, v7
	v_sub_f32_e32 v30, v33, v24
	v_div_fixup_f32 v9, v11, v33, v19
	v_fma_f32 v11, -v20, v15, 1.0
	v_cndmask_b32_e32 v3, v3, v18, vcc_lo
	v_div_scale_f32 v10, vcc_lo, v28, v1, v28
	v_add_f32_e32 v6, v34, v6
	v_fmac_f32_e32 v15, v11, v15
	ds_bpermute_b32 v11, v17, v2
	v_add_f32_e32 v8, v9, v8
	v_mul_f32_e32 v9, v16, v16
	ds_bpermute_b32 v14, v17, v6
	v_mul_f32_e32 v18, v10, v15
	v_mul_f32_e32 v22, v1, v1
	ds_bpermute_b32 v19, v17, v7
	v_mul_f32_e32 v12, v33, v9
	v_mul_f32_e32 v21, v16, v9
	v_fma_f32 v23, -v20, v18, v10
	v_mul_f32_e32 v29, v1, v22
	v_mul_f32_e32 v9, 0x40c00000, v9
	;; [unrolled: 1-line block ×4, first 2 shown]
	v_fmac_f32_e32 v18, v23, v15
	v_mul_f32_e32 v21, v16, v21
	ds_bpermute_b32 v13, v17, v3
	v_div_scale_f32 v26, null, v1, v1, v12
	v_fma_f32 v10, -v20, v18, v10
	v_mul_f32_e32 v27, v27, v24
	s_waitcnt lgkmcnt(3)
	v_cmp_gt_f32_e64 s0, v2, v11
	v_rcp_f32_e32 v23, v26
	v_mul_f32_e32 v21, v33, v21
	v_div_fmas_f32 v10, v10, v15, v18
	v_mul_f32_e32 v15, v6, v24
	v_cndmask_b32_e64 v2, v2, v11, s0
	v_mul_f32_e32 v11, v30, v27
	v_mul_f32_e32 v27, 0x40400000, v16
	;; [unrolled: 1-line block ×3, first 2 shown]
	s_waitcnt lgkmcnt(2)
	v_fma_f32 v15, v33, v14, -v15
	v_div_fixup_f32 v10, v10, v1, v28
	v_div_scale_f32 v20, null, v22, v22, v11
	v_fma_f32 v18, -v26, v23, 1.0
	v_mul_f32_e32 v15, v27, v15
	v_fma_f32 v27, -v33, v24, v25
	v_rcp_f32_e32 v30, v20
	v_mul_f32_e32 v25, v25, v14
	v_fmac_f32_e32 v23, v18, v23
	v_div_scale_f32 v18, vcc_lo, v12, v1, v12
	v_fmac_f32_e32 v27, v24, v24
	v_div_scale_f32 v32, null, v1, v1, v15
	v_mul_f32_e32 v31, v18, v23
	v_mul_f32_e32 v16, 4.0, v16
	v_mul_f32_e32 v21, v27, v21
	v_mul_f32_e32 v27, v24, v24
	v_fma_f32 v34, -v20, v30, 1.0
	v_fma_f32 v28, -v26, v31, v18
	v_mul_f32_e32 v24, v7, v24
	v_rcp_f32_e32 v35, v32
	v_fmac_f32_e32 v25, v27, v6
	v_fmac_f32_e32 v30, v34, v30
	v_div_scale_f32 v34, null, v29, v29, v21
	v_fmac_f32_e32 v31, v28, v23
	v_mul_f32_e32 v9, v9, v25
	s_waitcnt lgkmcnt(1)
	v_fma_f32 v24, v33, v19, -v24
	v_rcp_f32_e32 v37, v34
	v_div_scale_f32 v27, s0, v11, v22, v11
	v_div_scale_f32 v28, null, v22, v22, v9
	v_mul_f32_e32 v16, v16, v24
	v_fma_f32 v36, -v32, v35, 1.0
	v_mul_f32_e32 v25, v27, v30
	v_rcp_f32_e32 v39, v28
	v_fma_f32 v18, -v26, v31, v18
	v_fma_f32 v38, -v34, v37, 1.0
	v_div_scale_f32 v40, null, v1, v1, v16
	v_fmac_f32_e32 v35, v36, v35
	v_div_scale_f32 v36, s1, v15, v1, v15
	v_fmac_f32_e32 v37, v38, v37
	v_fma_f32 v26, -v20, v25, v27
	v_fma_f32 v38, -v28, v39, 1.0
	v_div_scale_f32 v24, s2, v21, v29, v21
	v_mul_f32_e32 v33, v36, v35
	v_fmac_f32_e32 v25, v26, v30
	v_fmac_f32_e32 v39, v38, v39
	v_rcp_f32_e32 v38, v40
	v_mul_f32_e32 v41, v24, v37
	v_fma_f32 v26, -v32, v33, v36
	v_div_scale_f32 v42, s3, v9, v22, v9
	v_div_fmas_f32 v18, v18, v23, v31
	v_fma_f32 v20, -v20, v25, v27
	v_fma_f32 v23, -v34, v41, v24
	v_fmac_f32_e32 v33, v26, v35
	ds_bpermute_b32 v17, v17, v8
	v_fma_f32 v27, -v40, v38, 1.0
	v_mul_f32_e32 v26, v42, v39
	s_mov_b32 vcc_lo, s0
	v_fmac_f32_e32 v41, v23, v37
	v_div_fmas_f32 v20, v20, v30, v25
	v_fmac_f32_e32 v38, v27, v38
	v_div_scale_f32 v27, s0, v16, v1, v16
	v_fma_f32 v25, -v32, v33, v36
	v_fma_f32 v23, -v28, v26, v42
	v_fma_f32 v24, -v34, v41, v24
	v_mul_f32_e32 v30, v27, v38
	s_mov_b32 vcc_lo, s1
	v_add_f32_e32 v6, v6, v14
	v_div_fmas_f32 v25, v25, v35, v33
	s_mov_b32 vcc_lo, s2
	v_fmac_f32_e32 v26, v23, v39
	v_div_fmas_f32 v23, v24, v37, v41
	v_fma_f32 v24, -v40, v30, v27
	s_mov_b32 vcc_lo, s3
	s_waitcnt lgkmcnt(0)
	v_add_f32_e32 v8, v8, v17
	v_fma_f32 v14, -v28, v26, v42
	v_div_fixup_f32 v17, v23, v29, v21
	v_fmac_f32_e32 v30, v24, v38
	v_add_f32_e32 v7, v7, v19
	v_div_fixup_f32 v11, v20, v22, v11
	v_div_fmas_f32 v14, v14, v39, v26
	s_mov_b32 vcc_lo, s0
	v_fma_f32 v19, -v40, v30, v27
	v_add_f32_e32 v8, v8, v17
	v_div_fixup_f32 v12, v18, v1, v12
	v_div_fixup_f32 v9, v14, v22, v9
	v_add_f32_e32 v7, v7, v11
	v_div_fmas_f32 v14, v19, v38, v30
	v_div_fixup_f32 v11, v25, v1, v15
	v_cmp_lt_f32_e32 vcc_lo, v3, v13
	v_add_f32_e32 v8, v9, v8
	v_add_f32_e32 v4, v4, v10
	v_div_fixup_f32 v14, v14, v1, v16
	v_add_f32_e32 v9, v6, v12
	v_cndmask_b32_e32 v3, v3, v13, vcc_lo
	v_add_f32_e32 v10, v11, v7
	v_add_f32_e32 v11, v14, v8
.LBB17_96:
	s_or_b32 exec_lo, exec_lo, s8
	s_branch .LBB17_124
.LBB17_97:
                                        ; implicit-def: $vgpr14
                                        ; implicit-def: $vgpr8
                                        ; implicit-def: $sgpr6_sgpr7
.LBB17_98:
	s_and_saveexec_b32 s0, s19
	s_cbranch_execnz .LBB17_129
.LBB17_99:
	s_endpgm
.LBB17_100:
                                        ; implicit-def: $vgpr1
                                        ; implicit-def: $vgpr9
	s_cbranch_execz .LBB17_124
; %bb.101:
	s_sub_i32 s0, s22, s10
	s_mov_b32 s1, exec_lo
                                        ; implicit-def: $vgpr9
                                        ; implicit-def: $vgpr4
	v_cmpx_gt_u32_e64 s0, v0
	s_cbranch_execz .LBB17_103
; %bb.102:
	s_mul_i32 s2, s10, 28
	s_mul_hi_u32 s3, s10, 28
	s_add_u32 s2, s20, s2
	s_addc_u32 s3, s21, s3
	s_waitcnt lgkmcnt(1)
	v_mad_u64_u32 v[6:7], null, v0, 28, s[2:3]
	s_clause 0x1
	global_load_dwordx4 v[1:4], v[6:7], off
	global_load_dwordx3 v[9:11], v[6:7], off offset:16
.LBB17_103:
	s_or_b32 exec_lo, exec_lo, s1
	v_cmp_ne_u32_e32 vcc_lo, 31, v5
	s_min_u32 s8, s0, 0x100
	v_add_nc_u32_e32 v17, 1, v5
	s_mov_b32 s9, exec_lo
	v_add_co_ci_u32_e64 v6, null, 0, v5, vcc_lo
	v_lshlrev_b32_e32 v6, 2, v6
	s_waitcnt vmcnt(1)
	ds_bpermute_b32 v13, v6, v1
	s_waitcnt lgkmcnt(4)
	ds_bpermute_b32 v15, v6, v2
	s_waitcnt lgkmcnt(3)
	ds_bpermute_b32 v7, v6, v3
	ds_bpermute_b32 v16, v6, v4
	s_waitcnt vmcnt(0)
	ds_bpermute_b32 v14, v6, v9
	s_waitcnt lgkmcnt(5)
	ds_bpermute_b32 v12, v6, v10
	ds_bpermute_b32 v8, v6, v11
	v_and_b32_e32 v6, 0xe0, v0
	v_sub_nc_u32_e64 v6, s8, v6 clamp
	v_cmpx_lt_u32_e64 v17, v6
	s_cbranch_execz .LBB17_105
; %bb.104:
	s_waitcnt lgkmcnt(3)
	v_sub_f32_e32 v16, v16, v4
	v_add_f32_e32 v17, v1, v13
	v_cmp_gt_f32_e32 vcc_lo, v2, v15
	v_sub_f32_e32 v20, v1, v13
	v_mul_f32_e32 v21, v9, v13
	v_mul_f32_e32 v18, v16, v13
	;; [unrolled: 1-line block ×3, first 2 shown]
	v_cndmask_b32_e32 v2, v2, v15, vcc_lo
	v_mul_f32_e32 v24, v1, v1
	v_mul_f32_e32 v28, 0x40400000, v16
	v_div_scale_f32 v22, null, v17, v17, v18
	v_mul_f32_e32 v23, v1, v19
	v_mul_f32_e32 v26, v16, v19
	v_div_scale_f32 v35, vcc_lo, v18, v17, v18
	v_rcp_f32_e32 v27, v22
	v_mul_f32_e32 v23, v23, v13
	v_mul_f32_e32 v29, v1, v26
	;; [unrolled: 1-line block ×3, first 2 shown]
	s_waitcnt lgkmcnt(2)
	v_fma_f32 v21, v1, v14, -v21
	v_fma_f32 v31, -v1, v13, v24
	v_div_scale_f32 v30, null, v17, v17, v23
	v_mul_f32_e32 v29, v29, v13
	v_mul_f32_e32 v26, v1, v26
	v_fma_f32 v33, -v22, v27, 1.0
	v_rcp_f32_e32 v34, v30
	v_mul_f32_e32 v25, v17, v17
	v_mul_f32_e32 v20, v20, v29
	;; [unrolled: 1-line block ×3, first 2 shown]
	v_fmac_f32_e32 v27, v33, v27
	v_fmac_f32_e32 v31, v13, v13
	v_mul_f32_e32 v26, v26, v13
	v_mul_f32_e32 v32, v17, v25
	v_div_scale_f32 v28, null, v25, v25, v20
	v_mul_f32_e32 v29, v35, v27
	v_fma_f32 v33, -v30, v34, 1.0
	v_mul_f32_e32 v26, v31, v26
	v_add_f32_e32 v15, v9, v14
	v_div_scale_f32 v36, s0, v23, v17, v23
	v_fma_f32 v38, -v22, v29, v35
	v_fmac_f32_e32 v34, v33, v34
	v_div_scale_f32 v33, null, v17, v17, v21
	v_rcp_f32_e32 v37, v28
	v_fmac_f32_e32 v29, v38, v27
	v_mul_f32_e32 v14, v24, v14
	v_rcp_f32_e32 v39, v33
	v_div_scale_f32 v24, null, v32, v32, v26
	v_fma_f32 v22, -v22, v29, v35
	v_mul_f32_e32 v38, v36, v34
	v_mul_f32_e32 v19, 0x40c00000, v19
	v_mul_f32_e32 v16, 4.0, v16
	v_fma_f32 v40, -v28, v37, 1.0
	v_div_fmas_f32 v22, v22, v27, v29
	v_mul_f32_e32 v27, v13, v13
	v_rcp_f32_e32 v29, v24
	v_mul_f32_e32 v13, v10, v13
	v_fma_f32 v35, -v30, v38, v36
	v_fmac_f32_e32 v37, v40, v37
	v_fmac_f32_e32 v14, v9, v27
	v_fma_f32 v27, -v33, v39, 1.0
	s_waitcnt lgkmcnt(1)
	v_fma_f32 v1, v1, v12, -v13
	v_fmac_f32_e32 v38, v35, v34
	v_div_scale_f32 v9, s1, v20, v25, v20
	v_mul_f32_e32 v14, v19, v14
	v_fmac_f32_e32 v39, v27, v39
	v_fma_f32 v35, -v24, v29, 1.0
	v_mul_f32_e32 v1, v16, v1
	v_fma_f32 v19, -v30, v38, v36
	v_div_scale_f32 v27, null, v25, v25, v14
	v_mul_f32_e32 v30, v9, v37
	v_fmac_f32_e32 v29, v35, v29
	v_div_scale_f32 v35, null, v17, v17, v1
	v_rcp_f32_e32 v13, v27
	v_div_scale_f32 v31, s2, v21, v17, v21
	s_mov_b32 vcc_lo, s0
	v_fma_f32 v16, -v28, v30, v9
	v_div_scale_f32 v36, s0, v26, v32, v26
	v_rcp_f32_e32 v40, v35
	v_div_fmas_f32 v19, v19, v34, v38
	v_mul_f32_e32 v34, v31, v39
	v_fma_f32 v38, -v27, v13, 1.0
	v_fmac_f32_e32 v30, v16, v37
	v_mul_f32_e32 v41, v36, v29
	v_add_f32_e32 v10, v10, v12
	v_fma_f32 v16, -v33, v34, v31
	v_fmac_f32_e32 v13, v38, v13
	v_div_scale_f32 v38, s3, v14, v25, v14
	v_fma_f32 v9, -v28, v30, v9
	v_fma_f32 v12, -v24, v41, v36
	v_fma_f32 v28, -v35, v40, 1.0
	v_fmac_f32_e32 v34, v16, v39
	v_mul_f32_e32 v16, v38, v13
	s_mov_b32 vcc_lo, s1
	v_fmac_f32_e32 v41, v12, v29
	v_fmac_f32_e32 v40, v28, v40
	v_div_scale_f32 v28, s1, v1, v17, v1
	v_div_fmas_f32 v9, v9, v37, v30
	v_fma_f32 v30, -v33, v34, v31
	v_fma_f32 v12, -v27, v16, v38
	;; [unrolled: 1-line block ×3, first 2 shown]
	v_mul_f32_e32 v31, v28, v40
	s_mov_b32 vcc_lo, s2
	v_div_fixup_f32 v9, v9, v25, v20
	v_div_fmas_f32 v30, v30, v39, v34
	s_mov_b32 vcc_lo, s0
	v_fmac_f32_e32 v16, v12, v13
	v_div_fmas_f32 v12, v24, v29, v41
	v_fma_f32 v24, -v35, v31, v28
	s_waitcnt lgkmcnt(0)
	v_add_f32_e32 v8, v11, v8
	s_mov_b32 vcc_lo, s3
	v_fma_f32 v11, -v27, v16, v38
	v_div_fixup_f32 v12, v12, v32, v26
	v_fmac_f32_e32 v31, v24, v40
	v_add_f32_e32 v9, v10, v9
	v_div_fmas_f32 v11, v11, v13, v16
	s_mov_b32 vcc_lo, s1
	v_fma_f32 v10, -v35, v31, v28
	v_div_fixup_f32 v13, v19, v17, v23
	v_add_f32_e32 v8, v8, v12
	v_div_fixup_f32 v11, v11, v25, v14
	v_div_fixup_f32 v12, v30, v17, v21
	v_div_fmas_f32 v10, v10, v40, v31
	v_div_fixup_f32 v14, v22, v17, v18
	v_add_f32_e32 v13, v15, v13
	v_add_f32_e32 v8, v11, v8
	v_cmp_lt_f32_e32 vcc_lo, v3, v7
	v_div_fixup_f32 v1, v10, v17, v1
	v_add_f32_e32 v10, v12, v9
	v_add_f32_e32 v4, v4, v14
	v_mov_b32_e32 v9, v13
	v_cndmask_b32_e32 v3, v3, v7, vcc_lo
	v_add_f32_e32 v11, v1, v8
	v_mov_b32_e32 v1, v17
.LBB17_105:
	s_or_b32 exec_lo, exec_lo, s9
	v_cmp_gt_u32_e32 vcc_lo, 30, v5
	v_add_nc_u32_e32 v17, 2, v5
	s_mov_b32 s9, exec_lo
	s_waitcnt lgkmcnt(4)
	v_cndmask_b32_e64 v7, 0, 2, vcc_lo
	s_waitcnt lgkmcnt(0)
	v_add_lshl_u32 v8, v7, v5, 2
	ds_bpermute_b32 v13, v8, v1
	ds_bpermute_b32 v15, v8, v2
	;; [unrolled: 1-line block ×7, first 2 shown]
	v_cmpx_lt_u32_e64 v17, v6
	s_cbranch_execz .LBB17_107
; %bb.106:
	s_waitcnt lgkmcnt(3)
	v_sub_f32_e32 v16, v16, v4
	v_add_f32_e32 v17, v1, v13
	v_cmp_gt_f32_e32 vcc_lo, v2, v15
	v_sub_f32_e32 v20, v1, v13
	v_mul_f32_e32 v21, v9, v13
	v_mul_f32_e32 v18, v16, v13
	;; [unrolled: 1-line block ×3, first 2 shown]
	v_cndmask_b32_e32 v2, v2, v15, vcc_lo
	v_mul_f32_e32 v24, v1, v1
	v_mul_f32_e32 v28, 0x40400000, v16
	v_div_scale_f32 v22, null, v17, v17, v18
	v_mul_f32_e32 v23, v1, v19
	v_mul_f32_e32 v26, v16, v19
	v_div_scale_f32 v35, vcc_lo, v18, v17, v18
	v_rcp_f32_e32 v27, v22
	v_mul_f32_e32 v23, v23, v13
	v_mul_f32_e32 v29, v1, v26
	;; [unrolled: 1-line block ×3, first 2 shown]
	s_waitcnt lgkmcnt(2)
	v_fma_f32 v21, v1, v14, -v21
	v_fma_f32 v31, -v1, v13, v24
	v_div_scale_f32 v30, null, v17, v17, v23
	v_mul_f32_e32 v29, v29, v13
	v_mul_f32_e32 v26, v1, v26
	v_fma_f32 v33, -v22, v27, 1.0
	v_rcp_f32_e32 v34, v30
	v_mul_f32_e32 v25, v17, v17
	v_mul_f32_e32 v20, v20, v29
	;; [unrolled: 1-line block ×3, first 2 shown]
	v_fmac_f32_e32 v27, v33, v27
	v_fmac_f32_e32 v31, v13, v13
	v_mul_f32_e32 v26, v26, v13
	v_mul_f32_e32 v32, v17, v25
	v_div_scale_f32 v28, null, v25, v25, v20
	v_mul_f32_e32 v29, v35, v27
	v_fma_f32 v33, -v30, v34, 1.0
	v_mul_f32_e32 v26, v31, v26
	v_add_f32_e32 v15, v9, v14
	v_div_scale_f32 v36, s0, v23, v17, v23
	v_fma_f32 v38, -v22, v29, v35
	v_fmac_f32_e32 v34, v33, v34
	v_div_scale_f32 v33, null, v17, v17, v21
	v_rcp_f32_e32 v37, v28
	v_fmac_f32_e32 v29, v38, v27
	v_mul_f32_e32 v14, v24, v14
	v_rcp_f32_e32 v39, v33
	v_div_scale_f32 v24, null, v32, v32, v26
	v_fma_f32 v22, -v22, v29, v35
	v_mul_f32_e32 v38, v36, v34
	v_mul_f32_e32 v19, 0x40c00000, v19
	v_mul_f32_e32 v16, 4.0, v16
	v_fma_f32 v40, -v28, v37, 1.0
	v_div_fmas_f32 v22, v22, v27, v29
	v_mul_f32_e32 v27, v13, v13
	v_rcp_f32_e32 v29, v24
	v_mul_f32_e32 v13, v10, v13
	v_fma_f32 v35, -v30, v38, v36
	v_fmac_f32_e32 v37, v40, v37
	v_fmac_f32_e32 v14, v9, v27
	v_fma_f32 v27, -v33, v39, 1.0
	s_waitcnt lgkmcnt(1)
	v_fma_f32 v1, v1, v12, -v13
	v_fmac_f32_e32 v38, v35, v34
	v_div_scale_f32 v9, s1, v20, v25, v20
	v_mul_f32_e32 v14, v19, v14
	v_fmac_f32_e32 v39, v27, v39
	v_fma_f32 v35, -v24, v29, 1.0
	v_mul_f32_e32 v1, v16, v1
	v_fma_f32 v19, -v30, v38, v36
	v_div_scale_f32 v27, null, v25, v25, v14
	v_mul_f32_e32 v30, v9, v37
	v_fmac_f32_e32 v29, v35, v29
	v_div_scale_f32 v35, null, v17, v17, v1
	v_rcp_f32_e32 v13, v27
	v_div_scale_f32 v31, s2, v21, v17, v21
	s_mov_b32 vcc_lo, s0
	v_fma_f32 v16, -v28, v30, v9
	v_div_scale_f32 v36, s0, v26, v32, v26
	v_rcp_f32_e32 v40, v35
	v_div_fmas_f32 v19, v19, v34, v38
	v_mul_f32_e32 v34, v31, v39
	v_fma_f32 v38, -v27, v13, 1.0
	v_fmac_f32_e32 v30, v16, v37
	v_mul_f32_e32 v41, v36, v29
	v_add_f32_e32 v10, v10, v12
	v_fma_f32 v16, -v33, v34, v31
	v_fmac_f32_e32 v13, v38, v13
	v_div_scale_f32 v38, s3, v14, v25, v14
	v_fma_f32 v9, -v28, v30, v9
	v_fma_f32 v12, -v24, v41, v36
	v_fma_f32 v28, -v35, v40, 1.0
	v_fmac_f32_e32 v34, v16, v39
	v_mul_f32_e32 v16, v38, v13
	s_mov_b32 vcc_lo, s1
	v_fmac_f32_e32 v41, v12, v29
	v_fmac_f32_e32 v40, v28, v40
	v_div_scale_f32 v28, s1, v1, v17, v1
	v_div_fmas_f32 v9, v9, v37, v30
	v_fma_f32 v30, -v33, v34, v31
	v_fma_f32 v12, -v27, v16, v38
	;; [unrolled: 1-line block ×3, first 2 shown]
	v_mul_f32_e32 v31, v28, v40
	s_mov_b32 vcc_lo, s2
	v_div_fixup_f32 v9, v9, v25, v20
	v_div_fmas_f32 v30, v30, v39, v34
	s_mov_b32 vcc_lo, s0
	v_fmac_f32_e32 v16, v12, v13
	v_div_fmas_f32 v12, v24, v29, v41
	v_fma_f32 v24, -v35, v31, v28
	s_waitcnt lgkmcnt(0)
	v_add_f32_e32 v8, v11, v8
	s_mov_b32 vcc_lo, s3
	v_fma_f32 v11, -v27, v16, v38
	v_div_fixup_f32 v12, v12, v32, v26
	v_fmac_f32_e32 v31, v24, v40
	v_add_f32_e32 v9, v10, v9
	v_div_fmas_f32 v11, v11, v13, v16
	s_mov_b32 vcc_lo, s1
	v_fma_f32 v10, -v35, v31, v28
	v_div_fixup_f32 v13, v19, v17, v23
	v_add_f32_e32 v8, v8, v12
	v_div_fixup_f32 v11, v11, v25, v14
	v_div_fixup_f32 v12, v30, v17, v21
	v_div_fmas_f32 v10, v10, v40, v31
	v_div_fixup_f32 v14, v22, v17, v18
	v_add_f32_e32 v13, v15, v13
	v_add_f32_e32 v8, v11, v8
	v_cmp_lt_f32_e32 vcc_lo, v3, v7
	v_div_fixup_f32 v1, v10, v17, v1
	v_add_f32_e32 v10, v12, v9
	v_add_f32_e32 v4, v4, v14
	v_mov_b32_e32 v9, v13
	v_cndmask_b32_e32 v3, v3, v7, vcc_lo
	v_add_f32_e32 v11, v1, v8
	v_mov_b32_e32 v1, v17
.LBB17_107:
	s_or_b32 exec_lo, exec_lo, s9
	v_cmp_gt_u32_e32 vcc_lo, 28, v5
	v_add_nc_u32_e32 v17, 4, v5
	s_mov_b32 s9, exec_lo
	s_waitcnt lgkmcnt(4)
	v_cndmask_b32_e64 v7, 0, 4, vcc_lo
	s_waitcnt lgkmcnt(0)
	v_add_lshl_u32 v8, v7, v5, 2
	ds_bpermute_b32 v13, v8, v1
	ds_bpermute_b32 v15, v8, v2
	;; [unrolled: 1-line block ×7, first 2 shown]
	v_cmpx_lt_u32_e64 v17, v6
	s_cbranch_execz .LBB17_109
; %bb.108:
	s_waitcnt lgkmcnt(3)
	v_sub_f32_e32 v16, v16, v4
	v_add_f32_e32 v17, v1, v13
	v_cmp_gt_f32_e32 vcc_lo, v2, v15
	v_sub_f32_e32 v20, v1, v13
	v_mul_f32_e32 v21, v9, v13
	v_mul_f32_e32 v18, v16, v13
	;; [unrolled: 1-line block ×3, first 2 shown]
	v_cndmask_b32_e32 v2, v2, v15, vcc_lo
	v_mul_f32_e32 v24, v1, v1
	v_mul_f32_e32 v28, 0x40400000, v16
	v_div_scale_f32 v22, null, v17, v17, v18
	v_mul_f32_e32 v23, v1, v19
	v_mul_f32_e32 v26, v16, v19
	v_div_scale_f32 v35, vcc_lo, v18, v17, v18
	v_rcp_f32_e32 v27, v22
	v_mul_f32_e32 v23, v23, v13
	v_mul_f32_e32 v29, v1, v26
	v_mul_f32_e32 v26, v16, v26
	s_waitcnt lgkmcnt(2)
	v_fma_f32 v21, v1, v14, -v21
	v_fma_f32 v31, -v1, v13, v24
	v_div_scale_f32 v30, null, v17, v17, v23
	v_mul_f32_e32 v29, v29, v13
	v_mul_f32_e32 v26, v1, v26
	v_fma_f32 v33, -v22, v27, 1.0
	v_rcp_f32_e32 v34, v30
	v_mul_f32_e32 v25, v17, v17
	v_mul_f32_e32 v20, v20, v29
	;; [unrolled: 1-line block ×3, first 2 shown]
	v_fmac_f32_e32 v27, v33, v27
	v_fmac_f32_e32 v31, v13, v13
	v_mul_f32_e32 v26, v26, v13
	v_mul_f32_e32 v32, v17, v25
	v_div_scale_f32 v28, null, v25, v25, v20
	v_mul_f32_e32 v29, v35, v27
	v_fma_f32 v33, -v30, v34, 1.0
	v_mul_f32_e32 v26, v31, v26
	v_add_f32_e32 v15, v9, v14
	v_div_scale_f32 v36, s0, v23, v17, v23
	v_fma_f32 v38, -v22, v29, v35
	v_fmac_f32_e32 v34, v33, v34
	v_div_scale_f32 v33, null, v17, v17, v21
	v_rcp_f32_e32 v37, v28
	v_fmac_f32_e32 v29, v38, v27
	v_mul_f32_e32 v14, v24, v14
	v_rcp_f32_e32 v39, v33
	v_div_scale_f32 v24, null, v32, v32, v26
	v_fma_f32 v22, -v22, v29, v35
	v_mul_f32_e32 v38, v36, v34
	v_mul_f32_e32 v19, 0x40c00000, v19
	v_mul_f32_e32 v16, 4.0, v16
	v_fma_f32 v40, -v28, v37, 1.0
	v_div_fmas_f32 v22, v22, v27, v29
	v_mul_f32_e32 v27, v13, v13
	v_rcp_f32_e32 v29, v24
	v_mul_f32_e32 v13, v10, v13
	v_fma_f32 v35, -v30, v38, v36
	v_fmac_f32_e32 v37, v40, v37
	v_fmac_f32_e32 v14, v9, v27
	v_fma_f32 v27, -v33, v39, 1.0
	s_waitcnt lgkmcnt(1)
	v_fma_f32 v1, v1, v12, -v13
	v_fmac_f32_e32 v38, v35, v34
	v_div_scale_f32 v9, s1, v20, v25, v20
	v_mul_f32_e32 v14, v19, v14
	v_fmac_f32_e32 v39, v27, v39
	v_fma_f32 v35, -v24, v29, 1.0
	v_mul_f32_e32 v1, v16, v1
	v_fma_f32 v19, -v30, v38, v36
	v_div_scale_f32 v27, null, v25, v25, v14
	v_mul_f32_e32 v30, v9, v37
	v_fmac_f32_e32 v29, v35, v29
	v_div_scale_f32 v35, null, v17, v17, v1
	v_rcp_f32_e32 v13, v27
	v_div_scale_f32 v31, s2, v21, v17, v21
	s_mov_b32 vcc_lo, s0
	v_fma_f32 v16, -v28, v30, v9
	v_div_scale_f32 v36, s0, v26, v32, v26
	v_rcp_f32_e32 v40, v35
	v_div_fmas_f32 v19, v19, v34, v38
	v_mul_f32_e32 v34, v31, v39
	v_fma_f32 v38, -v27, v13, 1.0
	v_fmac_f32_e32 v30, v16, v37
	v_mul_f32_e32 v41, v36, v29
	v_add_f32_e32 v10, v10, v12
	v_fma_f32 v16, -v33, v34, v31
	v_fmac_f32_e32 v13, v38, v13
	v_div_scale_f32 v38, s3, v14, v25, v14
	v_fma_f32 v9, -v28, v30, v9
	v_fma_f32 v12, -v24, v41, v36
	v_fma_f32 v28, -v35, v40, 1.0
	v_fmac_f32_e32 v34, v16, v39
	v_mul_f32_e32 v16, v38, v13
	s_mov_b32 vcc_lo, s1
	v_fmac_f32_e32 v41, v12, v29
	v_fmac_f32_e32 v40, v28, v40
	v_div_scale_f32 v28, s1, v1, v17, v1
	v_div_fmas_f32 v9, v9, v37, v30
	v_fma_f32 v30, -v33, v34, v31
	v_fma_f32 v12, -v27, v16, v38
	;; [unrolled: 1-line block ×3, first 2 shown]
	v_mul_f32_e32 v31, v28, v40
	s_mov_b32 vcc_lo, s2
	v_div_fixup_f32 v9, v9, v25, v20
	v_div_fmas_f32 v30, v30, v39, v34
	s_mov_b32 vcc_lo, s0
	v_fmac_f32_e32 v16, v12, v13
	v_div_fmas_f32 v12, v24, v29, v41
	v_fma_f32 v24, -v35, v31, v28
	s_waitcnt lgkmcnt(0)
	v_add_f32_e32 v8, v11, v8
	s_mov_b32 vcc_lo, s3
	v_fma_f32 v11, -v27, v16, v38
	v_div_fixup_f32 v12, v12, v32, v26
	v_fmac_f32_e32 v31, v24, v40
	v_add_f32_e32 v9, v10, v9
	v_div_fmas_f32 v11, v11, v13, v16
	s_mov_b32 vcc_lo, s1
	v_fma_f32 v10, -v35, v31, v28
	v_div_fixup_f32 v13, v19, v17, v23
	v_add_f32_e32 v8, v8, v12
	v_div_fixup_f32 v11, v11, v25, v14
	v_div_fixup_f32 v12, v30, v17, v21
	v_div_fmas_f32 v10, v10, v40, v31
	v_div_fixup_f32 v14, v22, v17, v18
	v_add_f32_e32 v13, v15, v13
	v_add_f32_e32 v8, v11, v8
	v_cmp_lt_f32_e32 vcc_lo, v3, v7
	v_div_fixup_f32 v1, v10, v17, v1
	v_add_f32_e32 v10, v12, v9
	v_add_f32_e32 v4, v4, v14
	v_mov_b32_e32 v9, v13
	v_cndmask_b32_e32 v3, v3, v7, vcc_lo
	v_add_f32_e32 v11, v1, v8
	v_mov_b32_e32 v1, v17
.LBB17_109:
	s_or_b32 exec_lo, exec_lo, s9
	v_cmp_gt_u32_e32 vcc_lo, 24, v5
	v_add_nc_u32_e32 v17, 8, v5
	s_mov_b32 s9, exec_lo
	s_waitcnt lgkmcnt(4)
	v_cndmask_b32_e64 v7, 0, 8, vcc_lo
	s_waitcnt lgkmcnt(0)
	v_add_lshl_u32 v8, v7, v5, 2
	ds_bpermute_b32 v13, v8, v1
	ds_bpermute_b32 v15, v8, v2
	;; [unrolled: 1-line block ×7, first 2 shown]
	v_cmpx_lt_u32_e64 v17, v6
	s_cbranch_execz .LBB17_111
; %bb.110:
	s_waitcnt lgkmcnt(3)
	v_sub_f32_e32 v16, v16, v4
	v_add_f32_e32 v17, v1, v13
	v_cmp_gt_f32_e32 vcc_lo, v2, v15
	v_sub_f32_e32 v20, v1, v13
	v_mul_f32_e32 v21, v9, v13
	v_mul_f32_e32 v18, v16, v13
	;; [unrolled: 1-line block ×3, first 2 shown]
	v_cndmask_b32_e32 v2, v2, v15, vcc_lo
	v_mul_f32_e32 v24, v1, v1
	v_mul_f32_e32 v28, 0x40400000, v16
	v_div_scale_f32 v22, null, v17, v17, v18
	v_mul_f32_e32 v23, v1, v19
	v_mul_f32_e32 v26, v16, v19
	v_div_scale_f32 v35, vcc_lo, v18, v17, v18
	v_rcp_f32_e32 v27, v22
	v_mul_f32_e32 v23, v23, v13
	v_mul_f32_e32 v29, v1, v26
	;; [unrolled: 1-line block ×3, first 2 shown]
	s_waitcnt lgkmcnt(2)
	v_fma_f32 v21, v1, v14, -v21
	v_fma_f32 v31, -v1, v13, v24
	v_div_scale_f32 v30, null, v17, v17, v23
	v_mul_f32_e32 v29, v29, v13
	v_mul_f32_e32 v26, v1, v26
	v_fma_f32 v33, -v22, v27, 1.0
	v_rcp_f32_e32 v34, v30
	v_mul_f32_e32 v25, v17, v17
	v_mul_f32_e32 v20, v20, v29
	;; [unrolled: 1-line block ×3, first 2 shown]
	v_fmac_f32_e32 v27, v33, v27
	v_fmac_f32_e32 v31, v13, v13
	v_mul_f32_e32 v26, v26, v13
	v_mul_f32_e32 v32, v17, v25
	v_div_scale_f32 v28, null, v25, v25, v20
	v_mul_f32_e32 v29, v35, v27
	v_fma_f32 v33, -v30, v34, 1.0
	v_mul_f32_e32 v26, v31, v26
	v_add_f32_e32 v15, v9, v14
	v_div_scale_f32 v36, s0, v23, v17, v23
	v_fma_f32 v38, -v22, v29, v35
	v_fmac_f32_e32 v34, v33, v34
	v_div_scale_f32 v33, null, v17, v17, v21
	v_rcp_f32_e32 v37, v28
	v_fmac_f32_e32 v29, v38, v27
	v_mul_f32_e32 v14, v24, v14
	v_rcp_f32_e32 v39, v33
	v_div_scale_f32 v24, null, v32, v32, v26
	v_fma_f32 v22, -v22, v29, v35
	v_mul_f32_e32 v38, v36, v34
	v_mul_f32_e32 v19, 0x40c00000, v19
	v_mul_f32_e32 v16, 4.0, v16
	v_fma_f32 v40, -v28, v37, 1.0
	v_div_fmas_f32 v22, v22, v27, v29
	v_mul_f32_e32 v27, v13, v13
	v_rcp_f32_e32 v29, v24
	v_mul_f32_e32 v13, v10, v13
	v_fma_f32 v35, -v30, v38, v36
	v_fmac_f32_e32 v37, v40, v37
	v_fmac_f32_e32 v14, v9, v27
	v_fma_f32 v27, -v33, v39, 1.0
	s_waitcnt lgkmcnt(1)
	v_fma_f32 v1, v1, v12, -v13
	v_fmac_f32_e32 v38, v35, v34
	v_div_scale_f32 v9, s1, v20, v25, v20
	v_mul_f32_e32 v14, v19, v14
	v_fmac_f32_e32 v39, v27, v39
	v_fma_f32 v35, -v24, v29, 1.0
	v_mul_f32_e32 v1, v16, v1
	v_fma_f32 v19, -v30, v38, v36
	v_div_scale_f32 v27, null, v25, v25, v14
	v_mul_f32_e32 v30, v9, v37
	v_fmac_f32_e32 v29, v35, v29
	v_div_scale_f32 v35, null, v17, v17, v1
	v_rcp_f32_e32 v13, v27
	v_div_scale_f32 v31, s2, v21, v17, v21
	s_mov_b32 vcc_lo, s0
	v_fma_f32 v16, -v28, v30, v9
	v_div_scale_f32 v36, s0, v26, v32, v26
	v_rcp_f32_e32 v40, v35
	v_div_fmas_f32 v19, v19, v34, v38
	v_mul_f32_e32 v34, v31, v39
	v_fma_f32 v38, -v27, v13, 1.0
	v_fmac_f32_e32 v30, v16, v37
	v_mul_f32_e32 v41, v36, v29
	v_add_f32_e32 v10, v10, v12
	v_fma_f32 v16, -v33, v34, v31
	v_fmac_f32_e32 v13, v38, v13
	v_div_scale_f32 v38, s3, v14, v25, v14
	v_fma_f32 v9, -v28, v30, v9
	v_fma_f32 v12, -v24, v41, v36
	v_fma_f32 v28, -v35, v40, 1.0
	v_fmac_f32_e32 v34, v16, v39
	v_mul_f32_e32 v16, v38, v13
	s_mov_b32 vcc_lo, s1
	v_fmac_f32_e32 v41, v12, v29
	v_fmac_f32_e32 v40, v28, v40
	v_div_scale_f32 v28, s1, v1, v17, v1
	v_div_fmas_f32 v9, v9, v37, v30
	v_fma_f32 v30, -v33, v34, v31
	v_fma_f32 v12, -v27, v16, v38
	;; [unrolled: 1-line block ×3, first 2 shown]
	v_mul_f32_e32 v31, v28, v40
	s_mov_b32 vcc_lo, s2
	v_div_fixup_f32 v9, v9, v25, v20
	v_div_fmas_f32 v30, v30, v39, v34
	s_mov_b32 vcc_lo, s0
	v_fmac_f32_e32 v16, v12, v13
	v_div_fmas_f32 v12, v24, v29, v41
	v_fma_f32 v24, -v35, v31, v28
	s_waitcnt lgkmcnt(0)
	v_add_f32_e32 v8, v11, v8
	s_mov_b32 vcc_lo, s3
	v_fma_f32 v11, -v27, v16, v38
	v_div_fixup_f32 v12, v12, v32, v26
	v_fmac_f32_e32 v31, v24, v40
	v_add_f32_e32 v9, v10, v9
	v_div_fmas_f32 v11, v11, v13, v16
	s_mov_b32 vcc_lo, s1
	v_fma_f32 v10, -v35, v31, v28
	v_div_fixup_f32 v13, v19, v17, v23
	v_add_f32_e32 v8, v8, v12
	v_div_fixup_f32 v11, v11, v25, v14
	v_div_fixup_f32 v12, v30, v17, v21
	v_div_fmas_f32 v10, v10, v40, v31
	v_div_fixup_f32 v14, v22, v17, v18
	v_add_f32_e32 v13, v15, v13
	v_add_f32_e32 v8, v11, v8
	v_cmp_lt_f32_e32 vcc_lo, v3, v7
	v_div_fixup_f32 v1, v10, v17, v1
	v_add_f32_e32 v10, v12, v9
	v_add_f32_e32 v4, v4, v14
	v_mov_b32_e32 v9, v13
	v_cndmask_b32_e32 v3, v3, v7, vcc_lo
	v_add_f32_e32 v11, v1, v8
	v_mov_b32_e32 v1, v17
.LBB17_111:
	s_or_b32 exec_lo, exec_lo, s9
	s_waitcnt lgkmcnt(4)
	v_lshlrev_b32_e32 v7, 2, v5
	v_add_nc_u32_e32 v18, 16, v5
	s_mov_b32 s9, exec_lo
	s_waitcnt lgkmcnt(1)
	v_or_b32_e32 v12, 64, v7
	ds_bpermute_b32 v14, v12, v1
	ds_bpermute_b32 v16, v12, v2
	s_waitcnt lgkmcnt(2)
	ds_bpermute_b32 v8, v12, v3
	ds_bpermute_b32 v17, v12, v4
	;; [unrolled: 1-line block ×5, first 2 shown]
	v_cmpx_lt_u32_e64 v18, v6
	s_cbranch_execz .LBB17_113
; %bb.112:
	s_waitcnt lgkmcnt(3)
	v_sub_f32_e32 v6, v17, v4
	v_add_f32_e32 v17, v1, v14
	v_cmp_gt_f32_e32 vcc_lo, v2, v16
	v_sub_f32_e32 v20, v1, v14
	v_mul_f32_e32 v21, v9, v14
	v_mul_f32_e32 v18, v6, v14
	;; [unrolled: 1-line block ×3, first 2 shown]
	v_cndmask_b32_e32 v2, v2, v16, vcc_lo
	v_mul_f32_e32 v24, v1, v1
	v_mul_f32_e32 v28, 0x40400000, v6
	v_div_scale_f32 v22, null, v17, v17, v18
	v_mul_f32_e32 v23, v1, v19
	v_mul_f32_e32 v26, v6, v19
	v_div_scale_f32 v35, vcc_lo, v18, v17, v18
	v_rcp_f32_e32 v27, v22
	v_mul_f32_e32 v23, v23, v14
	v_mul_f32_e32 v29, v1, v26
	;; [unrolled: 1-line block ×3, first 2 shown]
	s_waitcnt lgkmcnt(2)
	v_fma_f32 v21, v1, v15, -v21
	v_fma_f32 v31, -v1, v14, v24
	v_div_scale_f32 v30, null, v17, v17, v23
	v_mul_f32_e32 v29, v29, v14
	v_mul_f32_e32 v26, v1, v26
	v_fma_f32 v33, -v22, v27, 1.0
	v_rcp_f32_e32 v34, v30
	v_mul_f32_e32 v25, v17, v17
	v_mul_f32_e32 v20, v20, v29
	;; [unrolled: 1-line block ×3, first 2 shown]
	v_fmac_f32_e32 v27, v33, v27
	v_fmac_f32_e32 v31, v14, v14
	v_mul_f32_e32 v26, v26, v14
	v_mul_f32_e32 v32, v17, v25
	v_div_scale_f32 v28, null, v25, v25, v20
	v_mul_f32_e32 v29, v35, v27
	v_fma_f32 v33, -v30, v34, 1.0
	v_mul_f32_e32 v26, v31, v26
	v_add_f32_e32 v16, v9, v15
	v_div_scale_f32 v36, s0, v23, v17, v23
	v_fma_f32 v38, -v22, v29, v35
	v_fmac_f32_e32 v34, v33, v34
	v_div_scale_f32 v33, null, v17, v17, v21
	v_rcp_f32_e32 v37, v28
	v_fmac_f32_e32 v29, v38, v27
	v_mul_f32_e32 v15, v24, v15
	v_rcp_f32_e32 v39, v33
	v_div_scale_f32 v24, null, v32, v32, v26
	v_fma_f32 v22, -v22, v29, v35
	v_mul_f32_e32 v38, v36, v34
	v_mul_f32_e32 v19, 0x40c00000, v19
	v_mul_f32_e32 v6, 4.0, v6
	v_fma_f32 v40, -v28, v37, 1.0
	v_div_fmas_f32 v22, v22, v27, v29
	v_mul_f32_e32 v27, v14, v14
	v_rcp_f32_e32 v29, v24
	v_mul_f32_e32 v14, v10, v14
	v_fma_f32 v35, -v30, v38, v36
	v_fmac_f32_e32 v37, v40, v37
	v_fmac_f32_e32 v15, v9, v27
	v_fma_f32 v27, -v33, v39, 1.0
	s_waitcnt lgkmcnt(1)
	v_fma_f32 v1, v1, v13, -v14
	v_fmac_f32_e32 v38, v35, v34
	v_div_scale_f32 v9, s1, v20, v25, v20
	v_mul_f32_e32 v15, v19, v15
	v_fmac_f32_e32 v39, v27, v39
	v_fma_f32 v35, -v24, v29, 1.0
	v_mul_f32_e32 v1, v6, v1
	v_fma_f32 v19, -v30, v38, v36
	v_div_scale_f32 v27, null, v25, v25, v15
	v_mul_f32_e32 v30, v9, v37
	v_div_scale_f32 v31, s2, v21, v17, v21
	v_rcp_f32_e32 v14, v27
	v_fmac_f32_e32 v29, v35, v29
	v_div_scale_f32 v35, null, v17, v17, v1
	s_mov_b32 vcc_lo, s0
	v_fma_f32 v6, -v28, v30, v9
	v_div_fmas_f32 v19, v19, v34, v38
	v_mul_f32_e32 v34, v31, v39
	v_div_scale_f32 v36, s0, v26, v32, v26
	v_rcp_f32_e32 v40, v35
	v_fma_f32 v38, -v27, v14, 1.0
	v_fmac_f32_e32 v30, v6, v37
	v_fma_f32 v6, -v33, v34, v31
	v_mul_f32_e32 v41, v36, v29
	v_add_f32_e32 v10, v10, v13
	v_fmac_f32_e32 v14, v38, v14
	v_div_scale_f32 v38, s3, v15, v25, v15
	v_fma_f32 v9, -v28, v30, v9
	v_fmac_f32_e32 v34, v6, v39
	v_fma_f32 v6, -v24, v41, v36
	v_fma_f32 v28, -v35, v40, 1.0
	v_mul_f32_e32 v13, v38, v14
	s_mov_b32 vcc_lo, s1
	s_waitcnt lgkmcnt(0)
	v_add_f32_e32 v11, v11, v12
	v_fmac_f32_e32 v41, v6, v29
	v_fmac_f32_e32 v40, v28, v40
	v_div_scale_f32 v28, s1, v1, v17, v1
	v_div_fmas_f32 v9, v9, v37, v30
	v_fma_f32 v30, -v33, v34, v31
	v_fma_f32 v6, -v27, v13, v38
	;; [unrolled: 1-line block ×3, first 2 shown]
	v_mul_f32_e32 v31, v28, v40
	s_mov_b32 vcc_lo, s2
	v_div_fixup_f32 v9, v9, v25, v20
	v_div_fmas_f32 v30, v30, v39, v34
	s_mov_b32 vcc_lo, s0
	v_fmac_f32_e32 v13, v6, v14
	v_div_fmas_f32 v6, v24, v29, v41
	v_fma_f32 v24, -v35, v31, v28
	s_mov_b32 vcc_lo, s3
	v_add_f32_e32 v9, v10, v9
	v_fma_f32 v12, -v27, v13, v38
	v_div_fixup_f32 v6, v6, v32, v26
	v_fmac_f32_e32 v31, v24, v40
	v_div_fmas_f32 v12, v12, v14, v13
	s_mov_b32 vcc_lo, s1
	v_fma_f32 v10, -v35, v31, v28
	v_div_fixup_f32 v13, v19, v17, v23
	v_add_f32_e32 v6, v11, v6
	v_div_fixup_f32 v11, v12, v25, v15
	v_div_fixup_f32 v12, v30, v17, v21
	v_div_fmas_f32 v10, v10, v40, v31
	v_div_fixup_f32 v14, v22, v17, v18
	v_add_f32_e32 v13, v16, v13
	v_add_f32_e32 v6, v11, v6
	v_cmp_lt_f32_e32 vcc_lo, v3, v8
	v_div_fixup_f32 v1, v10, v17, v1
	v_add_f32_e32 v10, v12, v9
	v_add_f32_e32 v4, v4, v14
	v_mov_b32_e32 v9, v13
	v_cndmask_b32_e32 v3, v3, v8, vcc_lo
	v_add_f32_e32 v11, v1, v6
	v_mov_b32_e32 v1, v17
.LBB17_113:
	s_or_b32 exec_lo, exec_lo, s9
	s_mov_b32 s0, exec_lo
	v_cmpx_eq_u32_e32 0, v5
	s_cbranch_execz .LBB17_115
; %bb.114:
	v_lshrrev_b32_e32 v6, 5, v0
	v_mul_u32_u24_e32 v6, 28, v6
	ds_write2_b32 v6, v1, v2 offset1:1
	ds_write2_b32 v6, v3, v4 offset0:2 offset1:3
	ds_write2_b32 v6, v9, v10 offset0:4 offset1:5
	ds_write_b32 v6, v11 offset:24
.LBB17_115:
	s_or_b32 exec_lo, exec_lo, s0
	s_mov_b32 s9, exec_lo
	s_waitcnt lgkmcnt(0)
	s_barrier
	buffer_gl0_inv
	v_cmpx_gt_u32_e32 8, v0
	s_cbranch_execz .LBB17_123
; %bb.116:
	v_mul_u32_u24_e32 v8, 28, v5
	v_and_b32_e32 v6, 7, v5
	s_add_i32 s8, s8, 31
	ds_read2_b32 v[1:2], v8 offset1:1
	ds_read2_b32 v[3:4], v8 offset0:2 offset1:3
	ds_read2_b32 v[9:10], v8 offset0:4 offset1:5
	ds_read_b32 v11, v8 offset:24
	v_cmp_ne_u32_e32 vcc_lo, 7, v6
	s_lshr_b32 s8, s8, 5
	v_add_co_ci_u32_e64 v8, null, 0, v5, vcc_lo
	v_lshlrev_b32_e32 v8, 2, v8
	s_waitcnt lgkmcnt(3)
	ds_bpermute_b32 v15, v8, v1
	ds_bpermute_b32 v19, v8, v2
	s_waitcnt lgkmcnt(4)
	ds_bpermute_b32 v12, v8, v3
	ds_bpermute_b32 v20, v8, v4
	;; [unrolled: 3-line block ×3, first 2 shown]
	s_waitcnt lgkmcnt(6)
	ds_bpermute_b32 v13, v8, v11
	v_add_nc_u32_e32 v8, 1, v6
	v_mov_b32_e32 v18, v10
	v_mov_b32_e32 v17, v9
	v_cmp_gt_u32_e32 vcc_lo, s8, v8
	v_mov_b32_e32 v8, v1
	s_and_saveexec_b32 s10, vcc_lo
	s_cbranch_execz .LBB17_118
; %bb.117:
	s_waitcnt lgkmcnt(3)
	v_sub_f32_e32 v17, v20, v4
	v_cmp_gt_f32_e32 vcc_lo, v2, v19
	v_add_f32_e32 v8, v1, v15
	v_sub_f32_e32 v21, v1, v15
	v_mul_f32_e32 v22, v9, v15
	v_mul_f32_e32 v20, v17, v17
	v_cndmask_b32_e32 v2, v2, v19, vcc_lo
	v_mul_f32_e32 v19, v17, v15
	v_mul_f32_e32 v25, v1, v1
	;; [unrolled: 1-line block ×5, first 2 shown]
	v_div_scale_f32 v23, null, v8, v8, v19
	v_div_scale_f32 v36, vcc_lo, v19, v8, v19
	v_mul_f32_e32 v24, v24, v15
	v_rcp_f32_e32 v28, v23
	v_mul_f32_e32 v30, v1, v27
	v_mul_f32_e32 v27, v17, v27
	s_waitcnt lgkmcnt(2)
	v_fma_f32 v22, v1, v16, -v22
	v_div_scale_f32 v31, null, v8, v8, v24
	v_mul_f32_e32 v30, v30, v15
	v_fma_f32 v32, -v1, v15, v25
	v_mul_f32_e32 v27, v1, v27
	v_rcp_f32_e32 v35, v31
	v_fma_f32 v34, -v23, v28, 1.0
	v_mul_f32_e32 v21, v21, v30
	v_mul_f32_e32 v26, v8, v8
	;; [unrolled: 1-line block ×3, first 2 shown]
	v_fmac_f32_e32 v32, v15, v15
	v_fmac_f32_e32 v28, v34, v28
	v_mul_f32_e32 v27, v27, v15
	v_mul_f32_e32 v33, v8, v26
	v_div_scale_f32 v29, null, v26, v26, v21
	v_mul_f32_e32 v30, v36, v28
	v_fma_f32 v34, -v31, v35, 1.0
	v_mul_f32_e32 v27, v32, v27
	v_add_f32_e32 v18, v9, v16
	v_div_scale_f32 v37, s0, v24, v8, v24
	v_fma_f32 v39, -v23, v30, v36
	v_fmac_f32_e32 v35, v34, v35
	v_div_scale_f32 v34, null, v8, v8, v22
	v_rcp_f32_e32 v38, v29
	v_fmac_f32_e32 v30, v39, v28
	v_mul_f32_e32 v16, v25, v16
	v_rcp_f32_e32 v40, v34
	v_div_scale_f32 v25, null, v33, v33, v27
	v_fma_f32 v23, -v23, v30, v36
	v_mul_f32_e32 v39, v37, v35
	v_mul_f32_e32 v20, 0x40c00000, v20
	v_mul_f32_e32 v17, 4.0, v17
	v_fma_f32 v41, -v29, v38, 1.0
	v_div_fmas_f32 v23, v23, v28, v30
	v_mul_f32_e32 v28, v15, v15
	v_rcp_f32_e32 v30, v25
	v_mul_f32_e32 v15, v10, v15
	v_fma_f32 v36, -v31, v39, v37
	v_fmac_f32_e32 v38, v41, v38
	v_fmac_f32_e32 v16, v9, v28
	v_fma_f32 v28, -v34, v40, 1.0
	s_waitcnt lgkmcnt(1)
	v_fma_f32 v1, v1, v14, -v15
	v_fmac_f32_e32 v39, v36, v35
	v_div_scale_f32 v9, s1, v21, v26, v21
	v_mul_f32_e32 v16, v20, v16
	v_fmac_f32_e32 v40, v28, v40
	v_fma_f32 v36, -v25, v30, 1.0
	v_mul_f32_e32 v1, v17, v1
	v_fma_f32 v20, -v31, v39, v37
	v_div_scale_f32 v28, null, v26, v26, v16
	v_mul_f32_e32 v31, v9, v38
	v_fmac_f32_e32 v30, v36, v30
	v_div_scale_f32 v36, null, v8, v8, v1
	v_rcp_f32_e32 v15, v28
	v_div_scale_f32 v32, s2, v22, v8, v22
	s_mov_b32 vcc_lo, s0
	v_fma_f32 v17, -v29, v31, v9
	v_div_scale_f32 v37, s0, v27, v33, v27
	v_rcp_f32_e32 v41, v36
	v_div_fmas_f32 v20, v20, v35, v39
	v_mul_f32_e32 v35, v32, v40
	v_fma_f32 v39, -v28, v15, 1.0
	v_fmac_f32_e32 v31, v17, v38
	v_mul_f32_e32 v42, v37, v30
	v_add_f32_e32 v10, v10, v14
	v_fma_f32 v17, -v34, v35, v32
	v_fmac_f32_e32 v15, v39, v15
	v_div_scale_f32 v39, s3, v16, v26, v16
	v_fma_f32 v9, -v29, v31, v9
	v_fma_f32 v14, -v25, v42, v37
	v_fma_f32 v29, -v36, v41, 1.0
	v_fmac_f32_e32 v35, v17, v40
	v_mul_f32_e32 v17, v39, v15
	s_mov_b32 vcc_lo, s1
	v_fmac_f32_e32 v42, v14, v30
	v_fmac_f32_e32 v41, v29, v41
	v_div_scale_f32 v29, s1, v1, v8, v1
	v_div_fmas_f32 v9, v9, v38, v31
	v_fma_f32 v31, -v34, v35, v32
	v_fma_f32 v14, -v28, v17, v39
	;; [unrolled: 1-line block ×3, first 2 shown]
	v_mul_f32_e32 v32, v29, v41
	s_mov_b32 vcc_lo, s2
	v_div_fixup_f32 v9, v9, v26, v21
	v_div_fmas_f32 v31, v31, v40, v35
	s_mov_b32 vcc_lo, s0
	v_fmac_f32_e32 v17, v14, v15
	v_div_fmas_f32 v14, v25, v30, v42
	v_fma_f32 v25, -v36, v32, v29
	s_waitcnt lgkmcnt(0)
	v_add_f32_e32 v11, v11, v13
	s_mov_b32 vcc_lo, s3
	v_fma_f32 v13, -v28, v17, v39
	v_div_fixup_f32 v14, v14, v33, v27
	v_fmac_f32_e32 v32, v25, v41
	v_add_f32_e32 v9, v10, v9
	v_div_fmas_f32 v13, v13, v15, v17
	s_mov_b32 vcc_lo, s1
	v_fma_f32 v10, -v36, v32, v29
	v_div_fixup_f32 v15, v20, v8, v24
	v_add_f32_e32 v11, v11, v14
	v_div_fixup_f32 v13, v13, v26, v16
	v_div_fixup_f32 v14, v31, v8, v22
	v_div_fmas_f32 v10, v10, v41, v32
	v_div_fixup_f32 v16, v23, v8, v19
	v_add_f32_e32 v17, v18, v15
	v_add_f32_e32 v11, v13, v11
	;; [unrolled: 1-line block ×3, first 2 shown]
	v_div_fixup_f32 v1, v10, v8, v1
	v_cmp_lt_f32_e32 vcc_lo, v3, v12
	v_add_f32_e32 v4, v4, v16
	v_mov_b32_e32 v9, v17
	v_mov_b32_e32 v10, v18
	v_add_f32_e32 v11, v1, v11
	v_cndmask_b32_e32 v3, v3, v12, vcc_lo
	v_mov_b32_e32 v1, v8
.LBB17_118:
	s_or_b32 exec_lo, exec_lo, s10
	v_cmp_gt_u32_e32 vcc_lo, 6, v6
	s_waitcnt lgkmcnt(3)
	v_add_nc_u32_e32 v20, 2, v6
	s_mov_b32 s10, exec_lo
	v_cndmask_b32_e64 v12, 0, 2, vcc_lo
	v_add_lshl_u32 v12, v12, v5, 2
	s_waitcnt lgkmcnt(1)
	ds_bpermute_b32 v14, v12, v8
	ds_bpermute_b32 v16, v12, v2
	;; [unrolled: 1-line block ×5, first 2 shown]
	s_waitcnt lgkmcnt(5)
	ds_bpermute_b32 v13, v12, v18
	ds_bpermute_b32 v12, v12, v11
	v_cmpx_gt_u32_e64 s8, v20
	s_cbranch_execz .LBB17_120
; %bb.119:
	s_waitcnt lgkmcnt(3)
	v_sub_f32_e32 v17, v19, v4
	v_add_f32_e32 v8, v1, v14
	v_cmp_gt_f32_e32 vcc_lo, v2, v16
	v_sub_f32_e32 v20, v1, v14
	v_mul_f32_e32 v21, v9, v14
	v_mul_f32_e32 v18, v17, v14
	;; [unrolled: 1-line block ×3, first 2 shown]
	v_cndmask_b32_e32 v2, v2, v16, vcc_lo
	v_mul_f32_e32 v24, v1, v1
	v_mul_f32_e32 v28, 0x40400000, v17
	v_div_scale_f32 v22, null, v8, v8, v18
	v_mul_f32_e32 v23, v1, v19
	v_mul_f32_e32 v26, v17, v19
	v_div_scale_f32 v35, vcc_lo, v18, v8, v18
	v_rcp_f32_e32 v27, v22
	v_mul_f32_e32 v23, v23, v14
	v_mul_f32_e32 v29, v1, v26
	;; [unrolled: 1-line block ×3, first 2 shown]
	s_waitcnt lgkmcnt(2)
	v_fma_f32 v21, v1, v15, -v21
	v_fma_f32 v31, -v1, v14, v24
	v_div_scale_f32 v30, null, v8, v8, v23
	v_mul_f32_e32 v29, v29, v14
	v_mul_f32_e32 v26, v1, v26
	v_fma_f32 v33, -v22, v27, 1.0
	v_rcp_f32_e32 v34, v30
	v_mul_f32_e32 v25, v8, v8
	v_mul_f32_e32 v20, v20, v29
	v_mul_f32_e32 v21, v28, v21
	v_fmac_f32_e32 v27, v33, v27
	v_fmac_f32_e32 v31, v14, v14
	v_mul_f32_e32 v26, v26, v14
	v_mul_f32_e32 v32, v8, v25
	v_div_scale_f32 v28, null, v25, v25, v20
	v_mul_f32_e32 v29, v35, v27
	v_fma_f32 v33, -v30, v34, 1.0
	v_mul_f32_e32 v26, v31, v26
	v_add_f32_e32 v16, v9, v15
	v_div_scale_f32 v36, s0, v23, v8, v23
	v_fma_f32 v38, -v22, v29, v35
	v_fmac_f32_e32 v34, v33, v34
	v_div_scale_f32 v33, null, v8, v8, v21
	v_rcp_f32_e32 v37, v28
	v_fmac_f32_e32 v29, v38, v27
	v_mul_f32_e32 v15, v24, v15
	v_rcp_f32_e32 v39, v33
	v_div_scale_f32 v24, null, v32, v32, v26
	v_fma_f32 v22, -v22, v29, v35
	v_mul_f32_e32 v38, v36, v34
	v_mul_f32_e32 v19, 0x40c00000, v19
	v_mul_f32_e32 v17, 4.0, v17
	v_fma_f32 v40, -v28, v37, 1.0
	v_div_fmas_f32 v22, v22, v27, v29
	v_mul_f32_e32 v27, v14, v14
	v_rcp_f32_e32 v29, v24
	v_mul_f32_e32 v14, v10, v14
	v_fma_f32 v35, -v30, v38, v36
	v_fmac_f32_e32 v37, v40, v37
	v_fmac_f32_e32 v15, v9, v27
	v_fma_f32 v27, -v33, v39, 1.0
	s_waitcnt lgkmcnt(1)
	v_fma_f32 v1, v1, v13, -v14
	v_fmac_f32_e32 v38, v35, v34
	v_div_scale_f32 v9, s1, v20, v25, v20
	v_mul_f32_e32 v15, v19, v15
	v_fmac_f32_e32 v39, v27, v39
	v_fma_f32 v35, -v24, v29, 1.0
	v_mul_f32_e32 v1, v17, v1
	v_fma_f32 v19, -v30, v38, v36
	v_div_scale_f32 v27, null, v25, v25, v15
	v_mul_f32_e32 v30, v9, v37
	v_fmac_f32_e32 v29, v35, v29
	v_div_scale_f32 v35, null, v8, v8, v1
	v_rcp_f32_e32 v14, v27
	v_div_scale_f32 v31, s2, v21, v8, v21
	s_mov_b32 vcc_lo, s0
	v_fma_f32 v17, -v28, v30, v9
	v_div_scale_f32 v36, s0, v26, v32, v26
	v_rcp_f32_e32 v40, v35
	v_div_fmas_f32 v19, v19, v34, v38
	v_mul_f32_e32 v34, v31, v39
	v_fma_f32 v38, -v27, v14, 1.0
	v_fmac_f32_e32 v30, v17, v37
	v_mul_f32_e32 v41, v36, v29
	v_add_f32_e32 v10, v10, v13
	v_fma_f32 v17, -v33, v34, v31
	v_fmac_f32_e32 v14, v38, v14
	v_div_scale_f32 v38, s3, v15, v25, v15
	v_fma_f32 v9, -v28, v30, v9
	v_fma_f32 v13, -v24, v41, v36
	v_fma_f32 v28, -v35, v40, 1.0
	v_fmac_f32_e32 v34, v17, v39
	v_mul_f32_e32 v17, v38, v14
	s_mov_b32 vcc_lo, s1
	v_fmac_f32_e32 v41, v13, v29
	v_fmac_f32_e32 v40, v28, v40
	v_div_scale_f32 v28, s1, v1, v8, v1
	v_div_fmas_f32 v9, v9, v37, v30
	v_fma_f32 v30, -v33, v34, v31
	v_fma_f32 v13, -v27, v17, v38
	;; [unrolled: 1-line block ×3, first 2 shown]
	v_mul_f32_e32 v31, v28, v40
	s_mov_b32 vcc_lo, s2
	v_div_fixup_f32 v9, v9, v25, v20
	v_div_fmas_f32 v30, v30, v39, v34
	s_mov_b32 vcc_lo, s0
	v_fmac_f32_e32 v17, v13, v14
	v_div_fmas_f32 v13, v24, v29, v41
	v_fma_f32 v24, -v35, v31, v28
	s_waitcnt lgkmcnt(0)
	v_add_f32_e32 v11, v11, v12
	s_mov_b32 vcc_lo, s3
	v_fma_f32 v12, -v27, v17, v38
	v_div_fixup_f32 v13, v13, v32, v26
	v_fmac_f32_e32 v31, v24, v40
	v_add_f32_e32 v9, v10, v9
	v_div_fmas_f32 v12, v12, v14, v17
	s_mov_b32 vcc_lo, s1
	v_fma_f32 v10, -v35, v31, v28
	v_div_fixup_f32 v14, v19, v8, v23
	v_add_f32_e32 v11, v11, v13
	v_div_fixup_f32 v12, v12, v25, v15
	v_div_fixup_f32 v13, v30, v8, v21
	v_div_fmas_f32 v10, v10, v40, v31
	v_div_fixup_f32 v15, v22, v8, v18
	v_add_f32_e32 v17, v16, v14
	v_add_f32_e32 v11, v12, v11
	;; [unrolled: 1-line block ×3, first 2 shown]
	v_div_fixup_f32 v1, v10, v8, v1
	v_cmp_lt_f32_e32 vcc_lo, v3, v5
	v_add_f32_e32 v4, v4, v15
	v_mov_b32_e32 v9, v17
	v_mov_b32_e32 v10, v18
	v_add_f32_e32 v11, v1, v11
	v_cndmask_b32_e32 v3, v3, v5, vcc_lo
	v_mov_b32_e32 v1, v8
.LBB17_120:
	s_or_b32 exec_lo, exec_lo, s10
	s_waitcnt lgkmcnt(0)
	v_or_b32_e32 v12, 16, v7
	v_add_nc_u32_e32 v6, 4, v6
	s_mov_b32 s10, exec_lo
	ds_bpermute_b32 v13, v12, v8
	ds_bpermute_b32 v14, v12, v2
	;; [unrolled: 1-line block ×7, first 2 shown]
	v_cmpx_gt_u32_e64 s8, v6
	s_cbranch_execz .LBB17_122
; %bb.121:
	s_waitcnt lgkmcnt(3)
	v_sub_f32_e32 v6, v15, v4
	v_cmp_gt_f32_e32 vcc_lo, v2, v14
	v_add_f32_e32 v15, v1, v13
	v_sub_f32_e32 v16, v1, v13
	v_mul_f32_e32 v20, v1, v1
	v_mul_f32_e32 v18, v6, v6
	v_cndmask_b32_e32 v2, v2, v14, vcc_lo
	v_mul_f32_e32 v14, v6, v13
	v_mul_f32_e32 v17, v9, v13
	v_fma_f32 v27, -v1, v13, v20
	v_mul_f32_e32 v22, v1, v18
	v_mul_f32_e32 v23, v6, v18
	v_div_scale_f32 v19, null, v15, v15, v14
	v_div_scale_f32 v31, vcc_lo, v14, v15, v14
	v_mul_f32_e32 v22, v22, v13
	v_rcp_f32_e32 v24, v19
	v_mul_f32_e32 v26, v1, v23
	v_mul_f32_e32 v23, v6, v23
	;; [unrolled: 1-line block ×3, first 2 shown]
	v_div_scale_f32 v29, null, v15, v15, v22
	v_mul_f32_e32 v26, v26, v13
	v_mul_f32_e32 v23, v1, v23
	;; [unrolled: 1-line block ×3, first 2 shown]
	v_rcp_f32_e32 v32, v29
	v_fma_f32 v30, -v19, v24, 1.0
	v_mul_f32_e32 v16, v16, v26
	s_waitcnt lgkmcnt(2)
	v_fma_f32 v17, v1, v8, -v17
	v_div_scale_f32 v36, s0, v22, v15, v22
	v_fmac_f32_e32 v24, v30, v24
	v_fmac_f32_e32 v27, v13, v13
	v_mul_f32_e32 v23, v23, v13
	v_mul_f32_e32 v20, v20, v8
	v_fma_f32 v33, -v29, v32, 1.0
	v_mul_f32_e32 v26, v31, v24
	v_mul_f32_e32 v28, v15, v21
	;; [unrolled: 1-line block ×3, first 2 shown]
	v_div_scale_f32 v25, null, v21, v21, v16
	v_fma_f32 v35, -v19, v26, v31
	v_fmac_f32_e32 v32, v33, v32
	v_mul_f32_e32 v23, v27, v23
	v_mul_f32_e32 v18, 0x40c00000, v18
	v_div_scale_f32 v30, null, v15, v15, v17
	v_fmac_f32_e32 v26, v35, v24
	v_mul_f32_e32 v35, v36, v32
	v_rcp_f32_e32 v34, v25
	v_rcp_f32_e32 v33, v30
	v_mul_f32_e32 v6, 4.0, v6
	v_fma_f32 v19, -v19, v26, v31
	v_mul_f32_e32 v31, v13, v13
	v_mul_f32_e32 v13, v10, v13
	v_add_f32_e32 v8, v9, v8
	v_div_fmas_f32 v19, v19, v24, v26
	v_fmac_f32_e32 v20, v9, v31
	v_div_scale_f32 v24, null, v28, v28, v23
	v_fma_f32 v26, -v29, v35, v36
	v_fma_f32 v37, -v25, v34, 1.0
	v_mul_f32_e32 v18, v18, v20
	v_rcp_f32_e32 v31, v24
	s_waitcnt lgkmcnt(1)
	v_fma_f32 v1, v1, v7, -v13
	v_fmac_f32_e32 v35, v26, v32
	v_fmac_f32_e32 v34, v37, v34
	v_div_scale_f32 v26, null, v21, v21, v18
	v_div_fixup_f32 v14, v19, v15, v14
	v_div_scale_f32 v19, s1, v16, v21, v16
	v_rcp_f32_e32 v38, v26
	v_fma_f32 v27, -v30, v33, 1.0
	v_fma_f32 v37, -v24, v31, 1.0
	v_mul_f32_e32 v1, v6, v1
	v_mul_f32_e32 v20, v19, v34
	v_fma_f32 v13, -v29, v35, v36
	v_fmac_f32_e32 v33, v27, v33
	v_div_scale_f32 v27, s2, v17, v15, v17
	v_fmac_f32_e32 v31, v37, v31
	v_fma_f32 v37, -v26, v38, 1.0
	v_div_scale_f32 v39, null, v15, v15, v1
	v_fma_f32 v29, -v25, v20, v19
	v_mul_f32_e32 v36, v27, v33
	v_div_scale_f32 v6, s3, v23, v28, v23
	v_fmac_f32_e32 v38, v37, v38
	v_rcp_f32_e32 v37, v39
	v_fmac_f32_e32 v20, v29, v34
	v_fma_f32 v29, -v30, v36, v27
	v_mul_f32_e32 v40, v6, v31
	s_mov_b32 vcc_lo, s0
	v_div_scale_f32 v41, s8, v18, v21, v18
	v_div_fmas_f32 v13, v13, v32, v35
	v_fma_f32 v19, -v25, v20, v19
	v_fmac_f32_e32 v36, v29, v33
	v_fma_f32 v25, -v24, v40, v6
	v_fma_f32 v32, -v39, v37, 1.0
	s_mov_b32 vcc_lo, s1
	v_mul_f32_e32 v29, v41, v38
	v_div_fmas_f32 v19, v19, v34, v20
	v_fma_f32 v20, -v30, v36, v27
	v_fmac_f32_e32 v40, v25, v31
	v_fmac_f32_e32 v37, v32, v37
	v_div_scale_f32 v27, s0, v1, v15, v1
	v_fma_f32 v25, -v26, v29, v41
	v_fma_f32 v6, -v24, v40, v6
	s_mov_b32 vcc_lo, s2
	v_mul_f32_e32 v24, v27, v37
	v_div_fmas_f32 v20, v20, v33, v36
	v_fmac_f32_e32 v29, v25, v38
	s_mov_b32 vcc_lo, s3
	s_waitcnt lgkmcnt(0)
	v_add_f32_e32 v9, v11, v12
	v_fma_f32 v25, -v39, v24, v27
	v_div_fmas_f32 v6, v6, v31, v40
	v_fma_f32 v11, -v26, v29, v41
	s_mov_b32 vcc_lo, s8
	v_add_f32_e32 v7, v10, v7
	v_fmac_f32_e32 v24, v25, v37
	v_div_fixup_f32 v6, v6, v28, v23
	v_div_fmas_f32 v11, v11, v38, v29
	s_mov_b32 vcc_lo, s0
	v_div_fixup_f32 v10, v19, v21, v16
	v_fma_f32 v12, -v39, v24, v27
	v_add_f32_e32 v6, v9, v6
	v_div_fixup_f32 v9, v11, v21, v18
	v_add_f32_e32 v4, v4, v14
	v_add_f32_e32 v7, v7, v10
	v_div_fmas_f32 v11, v12, v37, v24
	v_div_fixup_f32 v12, v13, v15, v22
	v_div_fixup_f32 v10, v20, v15, v17
	v_add_f32_e32 v6, v9, v6
	v_cmp_lt_f32_e32 vcc_lo, v3, v5
	v_div_fixup_f32 v1, v11, v15, v1
	v_add_f32_e32 v9, v8, v12
	v_add_f32_e32 v10, v10, v7
	v_cndmask_b32_e32 v3, v3, v5, vcc_lo
	v_add_f32_e32 v11, v1, v6
	v_mov_b32_e32 v1, v15
.LBB17_122:
	s_or_b32 exec_lo, exec_lo, s10
.LBB17_123:
	s_or_b32 exec_lo, exec_lo, s9
.LBB17_124:
	s_mov_b32 s9, exec_lo
                                        ; implicit-def: $vgpr14
                                        ; implicit-def: $vgpr8
	v_cmpx_eq_u32_e32 0, v0
	s_cbranch_execz .LBB17_128
; %bb.125:
	s_waitcnt lgkmcnt(5)
	v_mov_b32_e32 v14, s18
	v_mov_b32_e32 v13, s17
	s_waitcnt lgkmcnt(0)
	v_mov_b32_e32 v12, s16
	v_mov_b32_e32 v8, s15
	;; [unrolled: 1-line block ×5, first 2 shown]
	s_cmp_eq_u64 s[22:23], 0
	s_cbranch_scc1 .LBB17_127
; %bb.126:
	v_subrev_f32_e32 v0, s15, v4
	v_cmp_gt_f32_e32 vcc_lo, s13, v2
	v_add_f32_e32 v5, s12, v1
	v_mul_f32_e32 v7, s16, v1
	v_mul_f32_e64 v13, s12, s12
	v_mul_f32_e32 v8, v0, v0
	v_cndmask_b32_e32 v6, s13, v2, vcc_lo
	v_mul_f32_e32 v2, v0, v1
	v_mul_f32_e32 v19, 0x40400000, v0
	v_fma_f32 v7, s12, v9, -v7
	v_mul_f32_e32 v15, s12, v8
	v_mul_f32_e32 v16, v0, v8
	v_div_scale_f32 v12, null, v5, v5, v2
	v_div_scale_f32 v24, vcc_lo, v2, v5, v2
	v_mul_f32_e32 v15, v1, v15
	v_rcp_f32_e32 v17, v12
	v_mul_f32_e32 v20, s12, v16
	v_mul_f32_e32 v7, v19, v7
	;; [unrolled: 1-line block ×3, first 2 shown]
	v_div_scale_f32 v22, null, v5, v5, v15
	v_sub_f32_e32 v4, s12, v1
	v_mul_f32_e32 v14, v1, v1
	v_fma_f32 v21, -s12, v1, v13
	v_rcp_f32_e32 v25, v22
	v_fma_f32 v23, -v12, v17, 1.0
	v_mul_f32_e32 v20, v1, v20
	v_mul_f32_e32 v16, s12, v16
	;; [unrolled: 1-line block ×3, first 2 shown]
	v_fmac_f32_e32 v21, v1, v1
	v_fmac_f32_e32 v17, v23, v17
	v_mul_f32_e32 v4, v4, v20
	v_mul_f32_e32 v16, v1, v16
	;; [unrolled: 1-line block ×3, first 2 shown]
	v_fma_f32 v26, -v22, v25, 1.0
	v_mul_f32_e32 v23, v24, v17
	v_mul_f32_e32 v20, v5, v18
	v_div_scale_f32 v19, null, v18, v18, v4
	v_fmac_f32_e32 v25, v26, v25
	v_fma_f32 v28, -v12, v23, v24
	v_div_scale_f32 v26, null, v5, v5, v7
	v_mul_f32_e32 v16, v21, v16
	v_mul_f32_e32 v8, 0x40c00000, v8
	v_fmac_f32_e32 v23, v28, v17
	v_fmac_f32_e32 v14, v13, v9
	v_rcp_f32_e32 v27, v19
	v_div_scale_f32 v29, s0, v15, v5, v15
	v_fma_f32 v12, -v12, v23, v24
	v_rcp_f32_e32 v24, v26
	v_mul_f32_e32 v8, v8, v14
	v_mul_f32_e32 v1, s17, v1
	;; [unrolled: 1-line block ×3, first 2 shown]
	v_div_fmas_f32 v12, v12, v17, v23
	v_div_scale_f32 v17, null, v20, v20, v16
	v_fma_f32 v30, -v19, v27, 1.0
	v_mul_f32_e32 v0, 4.0, v0
	v_fma_f32 v1, s12, v10, -v1
	v_fma_f32 v13, -v26, v24, 1.0
	v_rcp_f32_e32 v23, v17
	v_fma_f32 v21, -v22, v28, v29
	v_fmac_f32_e32 v27, v30, v27
	v_div_fixup_f32 v2, v12, v5, v2
	v_fmac_f32_e32 v24, v13, v24
	v_div_scale_f32 v13, null, v18, v18, v8
	v_div_scale_f32 v12, s1, v4, v18, v4
	v_mul_f32_e32 v0, v0, v1
	v_rcp_f32_e32 v31, v13
	v_fma_f32 v30, -v17, v23, 1.0
	v_fmac_f32_e32 v28, v21, v25
	v_mul_f32_e32 v14, v12, v27
	v_div_scale_f32 v21, s2, v7, v5, v7
	v_fmac_f32_e32 v23, v30, v23
	v_div_scale_f32 v33, null, v5, v5, v0
	v_fma_f32 v22, -v22, v28, v29
	v_fma_f32 v30, -v13, v31, 1.0
	v_fma_f32 v29, -v19, v14, v12
	v_mul_f32_e32 v32, v21, v24
	v_div_scale_f32 v1, s3, v16, v20, v16
	v_fmac_f32_e32 v31, v30, v31
	v_rcp_f32_e32 v30, v33
	v_fmac_f32_e32 v14, v29, v27
	v_fma_f32 v29, -v26, v32, v21
	v_mul_f32_e32 v34, v1, v23
	s_mov_b32 vcc_lo, s0
	v_div_scale_f32 v35, s8, v8, v18, v8
	v_div_fmas_f32 v22, v22, v25, v28
	v_fma_f32 v12, -v19, v14, v12
	v_fmac_f32_e32 v32, v29, v24
	v_fma_f32 v19, -v17, v34, v1
	v_fma_f32 v28, -v33, v30, 1.0
	s_mov_b32 vcc_lo, s1
	v_mul_f32_e32 v25, v35, v31
	v_div_fmas_f32 v12, v12, v27, v14
	v_fma_f32 v14, -v26, v32, v21
	v_fmac_f32_e32 v34, v19, v23
	v_fmac_f32_e32 v30, v28, v30
	v_div_scale_f32 v21, s0, v0, v5, v0
	v_fma_f32 v19, -v13, v25, v35
	v_fma_f32 v1, -v17, v34, v1
	s_mov_b32 vcc_lo, s2
	v_mul_f32_e32 v17, v21, v30
	v_div_fmas_f32 v14, v14, v24, v32
	v_fmac_f32_e32 v25, v19, v31
	s_mov_b32 vcc_lo, s3
	v_add_f32_e32 v11, s18, v11
	v_fma_f32 v19, -v33, v17, v21
	v_div_fmas_f32 v1, v1, v23, v34
	v_fma_f32 v13, -v13, v25, v35
	s_mov_b32 vcc_lo, s8
	v_div_fixup_f32 v4, v12, v18, v4
	v_fmac_f32_e32 v17, v19, v30
	v_div_fixup_f32 v1, v1, v20, v16
	v_div_fmas_f32 v13, v13, v31, v25
	s_mov_b32 vcc_lo, s0
	v_add_f32_e32 v10, s17, v10
	v_fma_f32 v12, -v33, v17, v21
	v_add_f32_e32 v1, v11, v1
	v_div_fixup_f32 v8, v13, v18, v8
	v_add_f32_e32 v9, s16, v9
	v_add_f32_e32 v4, v10, v4
	v_div_fmas_f32 v11, v12, v30, v17
	v_div_fixup_f32 v12, v22, v5, v15
	v_div_fixup_f32 v10, v14, v5, v7
	v_add_f32_e32 v1, v8, v1
	v_cmp_lt_f32_e32 vcc_lo, s14, v3
	v_div_fixup_f32 v0, v11, v5, v0
	v_add_f32_e32 v8, s15, v2
	v_add_f32_e32 v12, v9, v12
	;; [unrolled: 1-line block ×3, first 2 shown]
	v_cndmask_b32_e32 v7, s14, v3, vcc_lo
	v_add_f32_e32 v14, v0, v1
.LBB17_127:
	s_or_b32 s19, s19, exec_lo
.LBB17_128:
	s_or_b32 exec_lo, exec_lo, s9
	s_and_saveexec_b32 s0, s19
	s_cbranch_execz .LBB17_99
.LBB17_129:
	s_load_dwordx2 s[0:1], s[4:5], 0x18
	s_mul_i32 s2, s7, 28
	s_mul_hi_u32 s3, s6, 28
	s_mul_i32 s4, s6, 28
	v_mov_b32_e32 v0, 0
	s_add_i32 s3, s3, s2
	s_waitcnt lgkmcnt(0)
	s_add_u32 s0, s0, s4
	s_addc_u32 s1, s1, s3
	global_store_dwordx4 v0, v[5:8], s[0:1]
	global_store_dwordx3 v0, v[12:14], s[0:1] offset:16
	s_endpgm
.LBB17_130:
	v_mad_u64_u32 v[20:21], null, v5, 28, s[24:25]
	s_clause 0x1
	global_load_dwordx4 v[5:8], v[20:21], off
	global_load_dwordx3 v[20:22], v[20:21], off offset:16
	s_or_b32 exec_lo, exec_lo, s2
	s_and_saveexec_b32 s24, vcc_lo
	s_cbranch_execz .LBB17_29
.LBB17_131:
	s_waitcnt vmcnt(1)
	v_sub_f32_e32 v16, v16, v4
	v_cmp_lt_f32_e32 vcc_lo, v14, v2
	v_add_f32_e32 v29, v1, v13
	s_waitcnt vmcnt(0)
	v_mul_f32_e32 v34, v17, v13
	v_mul_f32_e32 v35, v1, v1
	;; [unrolled: 1-line block ×3, first 2 shown]
	v_cndmask_b32_e32 v2, v2, v14, vcc_lo
	v_mul_f32_e32 v14, v16, v13
	v_mul_f32_e32 v41, 0x40400000, v16
	v_fma_f32 v34, v1, v26, -v34
	v_mul_f32_e32 v37, v1, v32
	v_mul_f32_e32 v39, v16, v32
	v_div_scale_f32 v33, null, v29, v29, v14
	v_div_scale_f32 v46, vcc_lo, v14, v29, v14
	v_mul_f32_e32 v37, v13, v37
	v_rcp_f32_e32 v38, v33
	v_mul_f32_e32 v34, v41, v34
	v_mul_f32_e32 v42, v1, v39
	;; [unrolled: 1-line block ×3, first 2 shown]
	v_div_scale_f32 v44, null, v29, v29, v37
	v_sub_f32_e32 v31, v1, v13
	v_mul_f32_e32 v36, v13, v13
	v_fma_f32 v43, -v1, v13, v35
	v_rcp_f32_e32 v47, v44
	v_fma_f32 v45, -v33, v38, 1.0
	v_mul_f32_e32 v42, v13, v42
	v_mul_f32_e32 v39, v1, v39
	v_add_f32_e32 v30, v17, v26
	v_mul_f32_e32 v40, v29, v29
	v_fmac_f32_e32 v38, v45, v38
	v_mul_f32_e32 v17, v17, v36
	v_mul_f32_e32 v31, v31, v42
	v_fmac_f32_e32 v43, v13, v13
	v_fma_f32 v45, -v44, v47, 1.0
	v_mul_f32_e32 v41, v46, v38
	v_mul_f32_e32 v39, v13, v39
	;; [unrolled: 1-line block ×3, first 2 shown]
	v_div_scale_f32 v42, null, v40, v40, v31
	v_fma_f32 v48, -v33, v41, v46
	v_fmac_f32_e32 v47, v45, v47
	v_div_scale_f32 v45, null, v29, v29, v34
	v_mul_f32_e32 v39, v43, v39
	v_fmac_f32_e32 v41, v48, v38
	v_mul_f32_e32 v32, 0x40c00000, v32
	v_fmac_f32_e32 v17, v35, v26
	v_rcp_f32_e32 v49, v42
	v_div_scale_f32 v50, s2, v37, v29, v37
	v_fma_f32 v33, -v33, v41, v46
	v_mul_f32_e32 v17, v32, v17
	v_mul_f32_e32 v13, v18, v13
	;; [unrolled: 1-line block ×3, first 2 shown]
	v_mul_f32_e32 v16, 4.0, v16
	v_div_fmas_f32 v33, v33, v38, v41
	v_rcp_f32_e32 v38, v45
	v_fma_f32 v48, -v42, v49, 1.0
	v_fma_f32 v1, v1, v27, -v13
	v_fma_f32 v41, -v44, v46, v50
	v_div_fixup_f32 v14, v33, v29, v14
	v_div_scale_f32 v33, null, v36, v36, v39
	v_fmac_f32_e32 v49, v48, v49
	v_div_scale_f32 v26, s3, v31, v40, v31
	v_fma_f32 v35, -v45, v38, 1.0
	v_rcp_f32_e32 v43, v33
	v_mul_f32_e32 v1, v16, v1
	v_fmac_f32_e32 v46, v41, v47
	v_mul_f32_e32 v32, v26, v49
	v_fmac_f32_e32 v38, v35, v38
	v_div_scale_f32 v35, null, v40, v40, v17
	v_div_scale_f32 v52, null, v29, v29, v1
	v_div_scale_f32 v41, s8, v34, v29, v34
	v_rcp_f32_e32 v51, v35
	v_fma_f32 v48, -v33, v43, 1.0
	v_fma_f32 v13, -v44, v46, v50
	v_fma_f32 v44, -v42, v32, v26
	v_div_scale_f32 v16, s9, v39, v36, v39
	v_fmac_f32_e32 v43, v48, v43
	v_mul_f32_e32 v50, v41, v38
	v_fmac_f32_e32 v32, v44, v49
	s_mov_b32 vcc_lo, s2
	v_fma_f32 v48, -v35, v51, 1.0
	v_mul_f32_e32 v53, v16, v43
	v_fma_f32 v44, -v45, v50, v41
	v_div_scale_f32 v54, s10, v17, v40, v17
	v_fmac_f32_e32 v51, v48, v51
	v_rcp_f32_e32 v48, v52
	v_div_fmas_f32 v13, v13, v47, v46
	v_fma_f32 v26, -v42, v32, v26
	v_fma_f32 v42, -v33, v53, v16
	v_fmac_f32_e32 v50, v44, v38
	v_mul_f32_e32 v44, v54, v51
	s_mov_b32 vcc_lo, s3
	v_add_f32_e32 v19, v19, v28
	v_fmac_f32_e32 v53, v42, v43
	v_div_scale_f32 v42, s2, v1, v29, v1
	v_fma_f32 v46, -v52, v48, 1.0
	v_div_fmas_f32 v26, v26, v49, v32
	v_fma_f32 v32, -v45, v50, v41
	v_fma_f32 v41, -v35, v44, v54
	;; [unrolled: 1-line block ×3, first 2 shown]
	v_fmac_f32_e32 v48, v46, v48
	s_mov_b32 vcc_lo, s8
	v_add_f32_e32 v18, v18, v27
	v_div_fmas_f32 v32, v32, v38, v50
	v_fmac_f32_e32 v44, v41, v51
	v_mul_f32_e32 v33, v42, v48
	s_mov_b32 vcc_lo, s9
	v_div_fixup_f32 v13, v13, v29, v37
	v_div_fmas_f32 v16, v16, v43, v53
	v_fma_f32 v28, -v35, v44, v54
	v_fma_f32 v38, -v52, v33, v42
	s_mov_b32 vcc_lo, s10
	v_div_fixup_f32 v26, v26, v40, v31
	v_div_fixup_f32 v16, v16, v36, v39
	v_div_fmas_f32 v28, v28, v51, v44
	v_fmac_f32_e32 v33, v38, v48
	s_mov_b32 vcc_lo, s2
	v_add_f32_e32 v13, v30, v13
	v_add_f32_e32 v16, v19, v16
	v_div_fixup_f32 v17, v28, v40, v17
	v_fma_f32 v27, -v52, v33, v42
	v_add_f32_e32 v18, v18, v26
	v_div_fixup_f32 v26, v32, v29, v34
	v_add_f32_e32 v4, v4, v14
	v_add_f32_e32 v16, v17, v16
	v_div_fmas_f32 v19, v27, v48, v33
	v_cmp_lt_f32_e32 vcc_lo, v3, v15
	v_add_f32_e32 v18, v26, v18
	v_mov_b32_e32 v17, v13
	v_div_fixup_f32 v1, v19, v29, v1
	v_cndmask_b32_e32 v3, v3, v15, vcc_lo
	v_add_f32_e32 v19, v1, v16
	v_mov_b32_e32 v1, v29
	s_or_b32 exec_lo, exec_lo, s24
	s_and_saveexec_b32 s10, s1
	s_cbranch_execz .LBB17_30
.LBB17_132:
	s_waitcnt vmcnt(1)
	v_sub_f32_e32 v12, v12, v4
	v_cmp_lt_f32_e32 vcc_lo, v10, v2
	v_add_f32_e32 v13, v9, v1
	s_waitcnt vmcnt(0)
	v_mul_f32_e32 v27, v9, v17
	v_mul_f32_e32 v28, v1, v1
	;; [unrolled: 1-line block ×3, first 2 shown]
	v_cndmask_b32_e32 v2, v2, v10, vcc_lo
	v_mul_f32_e32 v10, v9, v12
	v_mul_f32_e32 v34, 0x40400000, v12
	v_fma_f32 v27, v23, v1, -v27
	v_mul_f32_e32 v30, v16, v1
	v_mul_f32_e32 v32, v12, v16
	v_div_scale_f32 v26, null, v13, v13, v10
	v_div_scale_f32 v39, vcc_lo, v10, v13, v10
	v_mul_f32_e32 v30, v9, v30
	v_rcp_f32_e32 v31, v26
	v_mul_f32_e32 v27, v34, v27
	v_mul_f32_e32 v35, v1, v32
	;; [unrolled: 1-line block ×3, first 2 shown]
	v_div_scale_f32 v37, null, v13, v13, v30
	v_sub_f32_e32 v15, v1, v9
	v_fma_f32 v36, -v9, v1, v28
	v_mul_f32_e32 v35, v9, v35
	v_rcp_f32_e32 v40, v37
	v_fma_f32 v38, -v26, v31, 1.0
	v_mul_f32_e32 v32, v1, v32
	v_add_f32_e32 v14, v23, v17
	v_mul_f32_e32 v29, v9, v9
	v_mul_f32_e32 v33, v13, v13
	v_fmac_f32_e32 v31, v38, v31
	v_mul_f32_e32 v23, v23, v28
	v_mul_f32_e32 v15, v15, v35
	v_fmac_f32_e32 v36, v9, v9
	v_fma_f32 v38, -v37, v40, 1.0
	v_mul_f32_e32 v34, v39, v31
	v_mul_f32_e32 v32, v9, v32
	;; [unrolled: 1-line block ×3, first 2 shown]
	v_div_scale_f32 v35, null, v33, v33, v15
	v_fma_f32 v41, -v26, v34, v39
	v_fmac_f32_e32 v40, v38, v40
	v_div_scale_f32 v38, null, v13, v13, v27
	v_mul_f32_e32 v32, v36, v32
	v_fmac_f32_e32 v34, v41, v31
	v_mul_f32_e32 v16, 0x40c00000, v16
	v_fmac_f32_e32 v23, v29, v17
	v_rcp_f32_e32 v42, v35
	v_div_scale_f32 v43, s1, v30, v13, v30
	v_fma_f32 v26, -v26, v34, v39
	v_mul_f32_e32 v16, v16, v23
	v_mul_f32_e32 v9, v9, v18
	;; [unrolled: 1-line block ×3, first 2 shown]
	v_mul_f32_e32 v12, 4.0, v12
	v_div_fmas_f32 v26, v26, v31, v34
	v_rcp_f32_e32 v31, v38
	v_fma_f32 v41, -v35, v42, 1.0
	v_fma_f32 v1, v24, v1, -v9
	v_fma_f32 v34, -v37, v39, v43
	v_div_fixup_f32 v10, v26, v13, v10
	v_div_scale_f32 v26, null, v28, v28, v32
	v_fmac_f32_e32 v42, v41, v42
	v_div_scale_f32 v17, s2, v15, v33, v15
	v_fma_f32 v29, -v38, v31, 1.0
	v_rcp_f32_e32 v36, v26
	v_mul_f32_e32 v1, v12, v1
	v_fmac_f32_e32 v39, v34, v40
	v_mul_f32_e32 v23, v17, v42
	v_fmac_f32_e32 v31, v29, v31
	v_div_scale_f32 v29, null, v33, v33, v16
	v_div_scale_f32 v45, null, v13, v13, v1
	v_div_scale_f32 v34, s3, v27, v13, v27
	v_rcp_f32_e32 v44, v29
	v_fma_f32 v41, -v26, v36, 1.0
	v_fma_f32 v9, -v37, v39, v43
	v_fma_f32 v37, -v35, v23, v17
	v_div_scale_f32 v12, s8, v32, v28, v32
	v_fmac_f32_e32 v36, v41, v36
	v_mul_f32_e32 v43, v34, v31
	v_fmac_f32_e32 v23, v37, v42
	s_mov_b32 vcc_lo, s1
	v_fma_f32 v41, -v29, v44, 1.0
	v_mul_f32_e32 v46, v12, v36
	v_fma_f32 v37, -v38, v43, v34
	v_div_scale_f32 v47, s9, v16, v33, v16
	v_fmac_f32_e32 v44, v41, v44
	v_rcp_f32_e32 v41, v45
	v_div_fmas_f32 v9, v9, v40, v39
	v_fma_f32 v17, -v35, v23, v17
	v_fma_f32 v35, -v26, v46, v12
	v_fmac_f32_e32 v43, v37, v31
	v_mul_f32_e32 v37, v47, v44
	s_mov_b32 vcc_lo, s2
	v_add_f32_e32 v19, v25, v19
	v_fmac_f32_e32 v46, v35, v36
	v_div_scale_f32 v35, s1, v1, v13, v1
	v_fma_f32 v39, -v45, v41, 1.0
	v_div_fmas_f32 v17, v17, v42, v23
	v_fma_f32 v23, -v38, v43, v34
	v_fma_f32 v34, -v29, v37, v47
	;; [unrolled: 1-line block ×3, first 2 shown]
	v_fmac_f32_e32 v41, v39, v41
	s_mov_b32 vcc_lo, s3
	v_div_fixup_f32 v15, v17, v33, v15
	v_div_fmas_f32 v23, v23, v31, v43
	v_fmac_f32_e32 v37, v34, v44
	v_mul_f32_e32 v26, v35, v41
	s_mov_b32 vcc_lo, s8
	v_div_fixup_f32 v9, v9, v13, v30
	v_div_fmas_f32 v12, v12, v36, v46
	v_fma_f32 v25, -v29, v37, v47
	v_fma_f32 v31, -v45, v26, v35
	s_mov_b32 vcc_lo, s9
	v_add_f32_e32 v18, v24, v18
	v_div_fixup_f32 v12, v12, v28, v32
	v_div_fmas_f32 v25, v25, v44, v37
	v_fmac_f32_e32 v26, v31, v41
	s_mov_b32 vcc_lo, s1
	v_add_f32_e32 v9, v14, v9
	v_add_f32_e32 v12, v19, v12
	v_div_fixup_f32 v16, v25, v33, v16
	v_fma_f32 v17, -v45, v26, v35
	v_add_f32_e32 v14, v18, v15
	v_div_fixup_f32 v15, v23, v13, v27
	v_add_f32_e32 v4, v4, v10
	v_add_f32_e32 v12, v16, v12
	v_div_fmas_f32 v17, v17, v41, v26
	v_cmp_lt_f32_e32 vcc_lo, v3, v11
	v_add_f32_e32 v18, v15, v14
	v_div_fixup_f32 v1, v17, v13, v1
	v_cndmask_b32_e32 v3, v3, v11, vcc_lo
	v_mov_b32_e32 v17, v9
	v_add_f32_e32 v19, v1, v12
	v_mov_b32_e32 v1, v13
	s_or_b32 exec_lo, exec_lo, s10
	s_and_saveexec_b32 s9, s0
	s_cbranch_execnz .LBB17_31
	s_branch .LBB17_32
	.section	.rodata,"a",@progbits
	.p2align	6, 0x0
	.amdhsa_kernel _ZN7rocprim17ROCPRIM_400000_NS6detail17trampoline_kernelINS0_14default_configENS1_22reduce_config_selectorI18summary_stats_dataIfEEEZNS1_11reduce_implILb1ES3_PS6_S9_S6_23summary_stats_binary_opIfEEE10hipError_tPvRmT1_T2_T3_mT4_P12ihipStream_tbEUlT_E1_NS1_11comp_targetILNS1_3genE8ELNS1_11target_archE1030ELNS1_3gpuE2ELNS1_3repE0EEENS1_30default_config_static_selectorELNS0_4arch9wavefront6targetE0EEEvSF_
		.amdhsa_group_segment_fixed_size 896
		.amdhsa_private_segment_fixed_size 0
		.amdhsa_kernarg_size 64
		.amdhsa_user_sgpr_count 6
		.amdhsa_user_sgpr_private_segment_buffer 1
		.amdhsa_user_sgpr_dispatch_ptr 0
		.amdhsa_user_sgpr_queue_ptr 0
		.amdhsa_user_sgpr_kernarg_segment_ptr 1
		.amdhsa_user_sgpr_dispatch_id 0
		.amdhsa_user_sgpr_flat_scratch_init 0
		.amdhsa_user_sgpr_private_segment_size 0
		.amdhsa_wavefront_size32 1
		.amdhsa_uses_dynamic_stack 0
		.amdhsa_system_sgpr_private_segment_wavefront_offset 0
		.amdhsa_system_sgpr_workgroup_id_x 1
		.amdhsa_system_sgpr_workgroup_id_y 0
		.amdhsa_system_sgpr_workgroup_id_z 0
		.amdhsa_system_sgpr_workgroup_info 0
		.amdhsa_system_vgpr_workitem_id 0
		.amdhsa_next_free_vgpr 62
		.amdhsa_next_free_sgpr 27
		.amdhsa_reserve_vcc 1
		.amdhsa_reserve_flat_scratch 0
		.amdhsa_float_round_mode_32 0
		.amdhsa_float_round_mode_16_64 0
		.amdhsa_float_denorm_mode_32 3
		.amdhsa_float_denorm_mode_16_64 3
		.amdhsa_dx10_clamp 1
		.amdhsa_ieee_mode 1
		.amdhsa_fp16_overflow 0
		.amdhsa_workgroup_processor_mode 1
		.amdhsa_memory_ordered 1
		.amdhsa_forward_progress 1
		.amdhsa_shared_vgpr_count 0
		.amdhsa_exception_fp_ieee_invalid_op 0
		.amdhsa_exception_fp_denorm_src 0
		.amdhsa_exception_fp_ieee_div_zero 0
		.amdhsa_exception_fp_ieee_overflow 0
		.amdhsa_exception_fp_ieee_underflow 0
		.amdhsa_exception_fp_ieee_inexact 0
		.amdhsa_exception_int_div_zero 0
	.end_amdhsa_kernel
	.section	.text._ZN7rocprim17ROCPRIM_400000_NS6detail17trampoline_kernelINS0_14default_configENS1_22reduce_config_selectorI18summary_stats_dataIfEEEZNS1_11reduce_implILb1ES3_PS6_S9_S6_23summary_stats_binary_opIfEEE10hipError_tPvRmT1_T2_T3_mT4_P12ihipStream_tbEUlT_E1_NS1_11comp_targetILNS1_3genE8ELNS1_11target_archE1030ELNS1_3gpuE2ELNS1_3repE0EEENS1_30default_config_static_selectorELNS0_4arch9wavefront6targetE0EEEvSF_,"axG",@progbits,_ZN7rocprim17ROCPRIM_400000_NS6detail17trampoline_kernelINS0_14default_configENS1_22reduce_config_selectorI18summary_stats_dataIfEEEZNS1_11reduce_implILb1ES3_PS6_S9_S6_23summary_stats_binary_opIfEEE10hipError_tPvRmT1_T2_T3_mT4_P12ihipStream_tbEUlT_E1_NS1_11comp_targetILNS1_3genE8ELNS1_11target_archE1030ELNS1_3gpuE2ELNS1_3repE0EEENS1_30default_config_static_selectorELNS0_4arch9wavefront6targetE0EEEvSF_,comdat
.Lfunc_end17:
	.size	_ZN7rocprim17ROCPRIM_400000_NS6detail17trampoline_kernelINS0_14default_configENS1_22reduce_config_selectorI18summary_stats_dataIfEEEZNS1_11reduce_implILb1ES3_PS6_S9_S6_23summary_stats_binary_opIfEEE10hipError_tPvRmT1_T2_T3_mT4_P12ihipStream_tbEUlT_E1_NS1_11comp_targetILNS1_3genE8ELNS1_11target_archE1030ELNS1_3gpuE2ELNS1_3repE0EEENS1_30default_config_static_selectorELNS0_4arch9wavefront6targetE0EEEvSF_, .Lfunc_end17-_ZN7rocprim17ROCPRIM_400000_NS6detail17trampoline_kernelINS0_14default_configENS1_22reduce_config_selectorI18summary_stats_dataIfEEEZNS1_11reduce_implILb1ES3_PS6_S9_S6_23summary_stats_binary_opIfEEE10hipError_tPvRmT1_T2_T3_mT4_P12ihipStream_tbEUlT_E1_NS1_11comp_targetILNS1_3genE8ELNS1_11target_archE1030ELNS1_3gpuE2ELNS1_3repE0EEENS1_30default_config_static_selectorELNS0_4arch9wavefront6targetE0EEEvSF_
                                        ; -- End function
	.set _ZN7rocprim17ROCPRIM_400000_NS6detail17trampoline_kernelINS0_14default_configENS1_22reduce_config_selectorI18summary_stats_dataIfEEEZNS1_11reduce_implILb1ES3_PS6_S9_S6_23summary_stats_binary_opIfEEE10hipError_tPvRmT1_T2_T3_mT4_P12ihipStream_tbEUlT_E1_NS1_11comp_targetILNS1_3genE8ELNS1_11target_archE1030ELNS1_3gpuE2ELNS1_3repE0EEENS1_30default_config_static_selectorELNS0_4arch9wavefront6targetE0EEEvSF_.num_vgpr, 62
	.set _ZN7rocprim17ROCPRIM_400000_NS6detail17trampoline_kernelINS0_14default_configENS1_22reduce_config_selectorI18summary_stats_dataIfEEEZNS1_11reduce_implILb1ES3_PS6_S9_S6_23summary_stats_binary_opIfEEE10hipError_tPvRmT1_T2_T3_mT4_P12ihipStream_tbEUlT_E1_NS1_11comp_targetILNS1_3genE8ELNS1_11target_archE1030ELNS1_3gpuE2ELNS1_3repE0EEENS1_30default_config_static_selectorELNS0_4arch9wavefront6targetE0EEEvSF_.num_agpr, 0
	.set _ZN7rocprim17ROCPRIM_400000_NS6detail17trampoline_kernelINS0_14default_configENS1_22reduce_config_selectorI18summary_stats_dataIfEEEZNS1_11reduce_implILb1ES3_PS6_S9_S6_23summary_stats_binary_opIfEEE10hipError_tPvRmT1_T2_T3_mT4_P12ihipStream_tbEUlT_E1_NS1_11comp_targetILNS1_3genE8ELNS1_11target_archE1030ELNS1_3gpuE2ELNS1_3repE0EEENS1_30default_config_static_selectorELNS0_4arch9wavefront6targetE0EEEvSF_.numbered_sgpr, 27
	.set _ZN7rocprim17ROCPRIM_400000_NS6detail17trampoline_kernelINS0_14default_configENS1_22reduce_config_selectorI18summary_stats_dataIfEEEZNS1_11reduce_implILb1ES3_PS6_S9_S6_23summary_stats_binary_opIfEEE10hipError_tPvRmT1_T2_T3_mT4_P12ihipStream_tbEUlT_E1_NS1_11comp_targetILNS1_3genE8ELNS1_11target_archE1030ELNS1_3gpuE2ELNS1_3repE0EEENS1_30default_config_static_selectorELNS0_4arch9wavefront6targetE0EEEvSF_.num_named_barrier, 0
	.set _ZN7rocprim17ROCPRIM_400000_NS6detail17trampoline_kernelINS0_14default_configENS1_22reduce_config_selectorI18summary_stats_dataIfEEEZNS1_11reduce_implILb1ES3_PS6_S9_S6_23summary_stats_binary_opIfEEE10hipError_tPvRmT1_T2_T3_mT4_P12ihipStream_tbEUlT_E1_NS1_11comp_targetILNS1_3genE8ELNS1_11target_archE1030ELNS1_3gpuE2ELNS1_3repE0EEENS1_30default_config_static_selectorELNS0_4arch9wavefront6targetE0EEEvSF_.private_seg_size, 0
	.set _ZN7rocprim17ROCPRIM_400000_NS6detail17trampoline_kernelINS0_14default_configENS1_22reduce_config_selectorI18summary_stats_dataIfEEEZNS1_11reduce_implILb1ES3_PS6_S9_S6_23summary_stats_binary_opIfEEE10hipError_tPvRmT1_T2_T3_mT4_P12ihipStream_tbEUlT_E1_NS1_11comp_targetILNS1_3genE8ELNS1_11target_archE1030ELNS1_3gpuE2ELNS1_3repE0EEENS1_30default_config_static_selectorELNS0_4arch9wavefront6targetE0EEEvSF_.uses_vcc, 1
	.set _ZN7rocprim17ROCPRIM_400000_NS6detail17trampoline_kernelINS0_14default_configENS1_22reduce_config_selectorI18summary_stats_dataIfEEEZNS1_11reduce_implILb1ES3_PS6_S9_S6_23summary_stats_binary_opIfEEE10hipError_tPvRmT1_T2_T3_mT4_P12ihipStream_tbEUlT_E1_NS1_11comp_targetILNS1_3genE8ELNS1_11target_archE1030ELNS1_3gpuE2ELNS1_3repE0EEENS1_30default_config_static_selectorELNS0_4arch9wavefront6targetE0EEEvSF_.uses_flat_scratch, 0
	.set _ZN7rocprim17ROCPRIM_400000_NS6detail17trampoline_kernelINS0_14default_configENS1_22reduce_config_selectorI18summary_stats_dataIfEEEZNS1_11reduce_implILb1ES3_PS6_S9_S6_23summary_stats_binary_opIfEEE10hipError_tPvRmT1_T2_T3_mT4_P12ihipStream_tbEUlT_E1_NS1_11comp_targetILNS1_3genE8ELNS1_11target_archE1030ELNS1_3gpuE2ELNS1_3repE0EEENS1_30default_config_static_selectorELNS0_4arch9wavefront6targetE0EEEvSF_.has_dyn_sized_stack, 0
	.set _ZN7rocprim17ROCPRIM_400000_NS6detail17trampoline_kernelINS0_14default_configENS1_22reduce_config_selectorI18summary_stats_dataIfEEEZNS1_11reduce_implILb1ES3_PS6_S9_S6_23summary_stats_binary_opIfEEE10hipError_tPvRmT1_T2_T3_mT4_P12ihipStream_tbEUlT_E1_NS1_11comp_targetILNS1_3genE8ELNS1_11target_archE1030ELNS1_3gpuE2ELNS1_3repE0EEENS1_30default_config_static_selectorELNS0_4arch9wavefront6targetE0EEEvSF_.has_recursion, 0
	.set _ZN7rocprim17ROCPRIM_400000_NS6detail17trampoline_kernelINS0_14default_configENS1_22reduce_config_selectorI18summary_stats_dataIfEEEZNS1_11reduce_implILb1ES3_PS6_S9_S6_23summary_stats_binary_opIfEEE10hipError_tPvRmT1_T2_T3_mT4_P12ihipStream_tbEUlT_E1_NS1_11comp_targetILNS1_3genE8ELNS1_11target_archE1030ELNS1_3gpuE2ELNS1_3repE0EEENS1_30default_config_static_selectorELNS0_4arch9wavefront6targetE0EEEvSF_.has_indirect_call, 0
	.section	.AMDGPU.csdata,"",@progbits
; Kernel info:
; codeLenInByte = 51092
; TotalNumSgprs: 29
; NumVgprs: 62
; ScratchSize: 0
; MemoryBound: 1
; FloatMode: 240
; IeeeMode: 1
; LDSByteSize: 896 bytes/workgroup (compile time only)
; SGPRBlocks: 0
; VGPRBlocks: 7
; NumSGPRsForWavesPerEU: 29
; NumVGPRsForWavesPerEU: 62
; Occupancy: 16
; WaveLimiterHint : 1
; COMPUTE_PGM_RSRC2:SCRATCH_EN: 0
; COMPUTE_PGM_RSRC2:USER_SGPR: 6
; COMPUTE_PGM_RSRC2:TRAP_HANDLER: 0
; COMPUTE_PGM_RSRC2:TGID_X_EN: 1
; COMPUTE_PGM_RSRC2:TGID_Y_EN: 0
; COMPUTE_PGM_RSRC2:TGID_Z_EN: 0
; COMPUTE_PGM_RSRC2:TIDIG_COMP_CNT: 0
	.section	.text._ZN7rocprim17ROCPRIM_400000_NS6detail17trampoline_kernelINS0_14default_configENS1_22reduce_config_selectorI18summary_stats_dataIfEEEZNS1_11reduce_implILb1ES3_N6thrust23THRUST_200600_302600_NS11hip_rocprim26transform_input_iterator_tIS6_NSA_6detail15normal_iteratorINSA_10device_ptrIfEEEE22summary_stats_unary_opIfEEEPS6_S6_23summary_stats_binary_opIfEEE10hipError_tPvRmT1_T2_T3_mT4_P12ihipStream_tbEUlT_E0_NS1_11comp_targetILNS1_3genE0ELNS1_11target_archE4294967295ELNS1_3gpuE0ELNS1_3repE0EEENS1_30default_config_static_selectorELNS0_4arch9wavefront6targetE0EEEvSR_,"axG",@progbits,_ZN7rocprim17ROCPRIM_400000_NS6detail17trampoline_kernelINS0_14default_configENS1_22reduce_config_selectorI18summary_stats_dataIfEEEZNS1_11reduce_implILb1ES3_N6thrust23THRUST_200600_302600_NS11hip_rocprim26transform_input_iterator_tIS6_NSA_6detail15normal_iteratorINSA_10device_ptrIfEEEE22summary_stats_unary_opIfEEEPS6_S6_23summary_stats_binary_opIfEEE10hipError_tPvRmT1_T2_T3_mT4_P12ihipStream_tbEUlT_E0_NS1_11comp_targetILNS1_3genE0ELNS1_11target_archE4294967295ELNS1_3gpuE0ELNS1_3repE0EEENS1_30default_config_static_selectorELNS0_4arch9wavefront6targetE0EEEvSR_,comdat
	.protected	_ZN7rocprim17ROCPRIM_400000_NS6detail17trampoline_kernelINS0_14default_configENS1_22reduce_config_selectorI18summary_stats_dataIfEEEZNS1_11reduce_implILb1ES3_N6thrust23THRUST_200600_302600_NS11hip_rocprim26transform_input_iterator_tIS6_NSA_6detail15normal_iteratorINSA_10device_ptrIfEEEE22summary_stats_unary_opIfEEEPS6_S6_23summary_stats_binary_opIfEEE10hipError_tPvRmT1_T2_T3_mT4_P12ihipStream_tbEUlT_E0_NS1_11comp_targetILNS1_3genE0ELNS1_11target_archE4294967295ELNS1_3gpuE0ELNS1_3repE0EEENS1_30default_config_static_selectorELNS0_4arch9wavefront6targetE0EEEvSR_ ; -- Begin function _ZN7rocprim17ROCPRIM_400000_NS6detail17trampoline_kernelINS0_14default_configENS1_22reduce_config_selectorI18summary_stats_dataIfEEEZNS1_11reduce_implILb1ES3_N6thrust23THRUST_200600_302600_NS11hip_rocprim26transform_input_iterator_tIS6_NSA_6detail15normal_iteratorINSA_10device_ptrIfEEEE22summary_stats_unary_opIfEEEPS6_S6_23summary_stats_binary_opIfEEE10hipError_tPvRmT1_T2_T3_mT4_P12ihipStream_tbEUlT_E0_NS1_11comp_targetILNS1_3genE0ELNS1_11target_archE4294967295ELNS1_3gpuE0ELNS1_3repE0EEENS1_30default_config_static_selectorELNS0_4arch9wavefront6targetE0EEEvSR_
	.globl	_ZN7rocprim17ROCPRIM_400000_NS6detail17trampoline_kernelINS0_14default_configENS1_22reduce_config_selectorI18summary_stats_dataIfEEEZNS1_11reduce_implILb1ES3_N6thrust23THRUST_200600_302600_NS11hip_rocprim26transform_input_iterator_tIS6_NSA_6detail15normal_iteratorINSA_10device_ptrIfEEEE22summary_stats_unary_opIfEEEPS6_S6_23summary_stats_binary_opIfEEE10hipError_tPvRmT1_T2_T3_mT4_P12ihipStream_tbEUlT_E0_NS1_11comp_targetILNS1_3genE0ELNS1_11target_archE4294967295ELNS1_3gpuE0ELNS1_3repE0EEENS1_30default_config_static_selectorELNS0_4arch9wavefront6targetE0EEEvSR_
	.p2align	8
	.type	_ZN7rocprim17ROCPRIM_400000_NS6detail17trampoline_kernelINS0_14default_configENS1_22reduce_config_selectorI18summary_stats_dataIfEEEZNS1_11reduce_implILb1ES3_N6thrust23THRUST_200600_302600_NS11hip_rocprim26transform_input_iterator_tIS6_NSA_6detail15normal_iteratorINSA_10device_ptrIfEEEE22summary_stats_unary_opIfEEEPS6_S6_23summary_stats_binary_opIfEEE10hipError_tPvRmT1_T2_T3_mT4_P12ihipStream_tbEUlT_E0_NS1_11comp_targetILNS1_3genE0ELNS1_11target_archE4294967295ELNS1_3gpuE0ELNS1_3repE0EEENS1_30default_config_static_selectorELNS0_4arch9wavefront6targetE0EEEvSR_,@function
_ZN7rocprim17ROCPRIM_400000_NS6detail17trampoline_kernelINS0_14default_configENS1_22reduce_config_selectorI18summary_stats_dataIfEEEZNS1_11reduce_implILb1ES3_N6thrust23THRUST_200600_302600_NS11hip_rocprim26transform_input_iterator_tIS6_NSA_6detail15normal_iteratorINSA_10device_ptrIfEEEE22summary_stats_unary_opIfEEEPS6_S6_23summary_stats_binary_opIfEEE10hipError_tPvRmT1_T2_T3_mT4_P12ihipStream_tbEUlT_E0_NS1_11comp_targetILNS1_3genE0ELNS1_11target_archE4294967295ELNS1_3gpuE0ELNS1_3repE0EEENS1_30default_config_static_selectorELNS0_4arch9wavefront6targetE0EEEvSR_: ; @_ZN7rocprim17ROCPRIM_400000_NS6detail17trampoline_kernelINS0_14default_configENS1_22reduce_config_selectorI18summary_stats_dataIfEEEZNS1_11reduce_implILb1ES3_N6thrust23THRUST_200600_302600_NS11hip_rocprim26transform_input_iterator_tIS6_NSA_6detail15normal_iteratorINSA_10device_ptrIfEEEE22summary_stats_unary_opIfEEEPS6_S6_23summary_stats_binary_opIfEEE10hipError_tPvRmT1_T2_T3_mT4_P12ihipStream_tbEUlT_E0_NS1_11comp_targetILNS1_3genE0ELNS1_11target_archE4294967295ELNS1_3gpuE0ELNS1_3repE0EEENS1_30default_config_static_selectorELNS0_4arch9wavefront6targetE0EEEvSR_
; %bb.0:
	.section	.rodata,"a",@progbits
	.p2align	6, 0x0
	.amdhsa_kernel _ZN7rocprim17ROCPRIM_400000_NS6detail17trampoline_kernelINS0_14default_configENS1_22reduce_config_selectorI18summary_stats_dataIfEEEZNS1_11reduce_implILb1ES3_N6thrust23THRUST_200600_302600_NS11hip_rocprim26transform_input_iterator_tIS6_NSA_6detail15normal_iteratorINSA_10device_ptrIfEEEE22summary_stats_unary_opIfEEEPS6_S6_23summary_stats_binary_opIfEEE10hipError_tPvRmT1_T2_T3_mT4_P12ihipStream_tbEUlT_E0_NS1_11comp_targetILNS1_3genE0ELNS1_11target_archE4294967295ELNS1_3gpuE0ELNS1_3repE0EEENS1_30default_config_static_selectorELNS0_4arch9wavefront6targetE0EEEvSR_
		.amdhsa_group_segment_fixed_size 0
		.amdhsa_private_segment_fixed_size 0
		.amdhsa_kernarg_size 88
		.amdhsa_user_sgpr_count 6
		.amdhsa_user_sgpr_private_segment_buffer 1
		.amdhsa_user_sgpr_dispatch_ptr 0
		.amdhsa_user_sgpr_queue_ptr 0
		.amdhsa_user_sgpr_kernarg_segment_ptr 1
		.amdhsa_user_sgpr_dispatch_id 0
		.amdhsa_user_sgpr_flat_scratch_init 0
		.amdhsa_user_sgpr_private_segment_size 0
		.amdhsa_wavefront_size32 1
		.amdhsa_uses_dynamic_stack 0
		.amdhsa_system_sgpr_private_segment_wavefront_offset 0
		.amdhsa_system_sgpr_workgroup_id_x 1
		.amdhsa_system_sgpr_workgroup_id_y 0
		.amdhsa_system_sgpr_workgroup_id_z 0
		.amdhsa_system_sgpr_workgroup_info 0
		.amdhsa_system_vgpr_workitem_id 0
		.amdhsa_next_free_vgpr 1
		.amdhsa_next_free_sgpr 1
		.amdhsa_reserve_vcc 0
		.amdhsa_reserve_flat_scratch 0
		.amdhsa_float_round_mode_32 0
		.amdhsa_float_round_mode_16_64 0
		.amdhsa_float_denorm_mode_32 3
		.amdhsa_float_denorm_mode_16_64 3
		.amdhsa_dx10_clamp 1
		.amdhsa_ieee_mode 1
		.amdhsa_fp16_overflow 0
		.amdhsa_workgroup_processor_mode 1
		.amdhsa_memory_ordered 1
		.amdhsa_forward_progress 1
		.amdhsa_shared_vgpr_count 0
		.amdhsa_exception_fp_ieee_invalid_op 0
		.amdhsa_exception_fp_denorm_src 0
		.amdhsa_exception_fp_ieee_div_zero 0
		.amdhsa_exception_fp_ieee_overflow 0
		.amdhsa_exception_fp_ieee_underflow 0
		.amdhsa_exception_fp_ieee_inexact 0
		.amdhsa_exception_int_div_zero 0
	.end_amdhsa_kernel
	.section	.text._ZN7rocprim17ROCPRIM_400000_NS6detail17trampoline_kernelINS0_14default_configENS1_22reduce_config_selectorI18summary_stats_dataIfEEEZNS1_11reduce_implILb1ES3_N6thrust23THRUST_200600_302600_NS11hip_rocprim26transform_input_iterator_tIS6_NSA_6detail15normal_iteratorINSA_10device_ptrIfEEEE22summary_stats_unary_opIfEEEPS6_S6_23summary_stats_binary_opIfEEE10hipError_tPvRmT1_T2_T3_mT4_P12ihipStream_tbEUlT_E0_NS1_11comp_targetILNS1_3genE0ELNS1_11target_archE4294967295ELNS1_3gpuE0ELNS1_3repE0EEENS1_30default_config_static_selectorELNS0_4arch9wavefront6targetE0EEEvSR_,"axG",@progbits,_ZN7rocprim17ROCPRIM_400000_NS6detail17trampoline_kernelINS0_14default_configENS1_22reduce_config_selectorI18summary_stats_dataIfEEEZNS1_11reduce_implILb1ES3_N6thrust23THRUST_200600_302600_NS11hip_rocprim26transform_input_iterator_tIS6_NSA_6detail15normal_iteratorINSA_10device_ptrIfEEEE22summary_stats_unary_opIfEEEPS6_S6_23summary_stats_binary_opIfEEE10hipError_tPvRmT1_T2_T3_mT4_P12ihipStream_tbEUlT_E0_NS1_11comp_targetILNS1_3genE0ELNS1_11target_archE4294967295ELNS1_3gpuE0ELNS1_3repE0EEENS1_30default_config_static_selectorELNS0_4arch9wavefront6targetE0EEEvSR_,comdat
.Lfunc_end18:
	.size	_ZN7rocprim17ROCPRIM_400000_NS6detail17trampoline_kernelINS0_14default_configENS1_22reduce_config_selectorI18summary_stats_dataIfEEEZNS1_11reduce_implILb1ES3_N6thrust23THRUST_200600_302600_NS11hip_rocprim26transform_input_iterator_tIS6_NSA_6detail15normal_iteratorINSA_10device_ptrIfEEEE22summary_stats_unary_opIfEEEPS6_S6_23summary_stats_binary_opIfEEE10hipError_tPvRmT1_T2_T3_mT4_P12ihipStream_tbEUlT_E0_NS1_11comp_targetILNS1_3genE0ELNS1_11target_archE4294967295ELNS1_3gpuE0ELNS1_3repE0EEENS1_30default_config_static_selectorELNS0_4arch9wavefront6targetE0EEEvSR_, .Lfunc_end18-_ZN7rocprim17ROCPRIM_400000_NS6detail17trampoline_kernelINS0_14default_configENS1_22reduce_config_selectorI18summary_stats_dataIfEEEZNS1_11reduce_implILb1ES3_N6thrust23THRUST_200600_302600_NS11hip_rocprim26transform_input_iterator_tIS6_NSA_6detail15normal_iteratorINSA_10device_ptrIfEEEE22summary_stats_unary_opIfEEEPS6_S6_23summary_stats_binary_opIfEEE10hipError_tPvRmT1_T2_T3_mT4_P12ihipStream_tbEUlT_E0_NS1_11comp_targetILNS1_3genE0ELNS1_11target_archE4294967295ELNS1_3gpuE0ELNS1_3repE0EEENS1_30default_config_static_selectorELNS0_4arch9wavefront6targetE0EEEvSR_
                                        ; -- End function
	.set _ZN7rocprim17ROCPRIM_400000_NS6detail17trampoline_kernelINS0_14default_configENS1_22reduce_config_selectorI18summary_stats_dataIfEEEZNS1_11reduce_implILb1ES3_N6thrust23THRUST_200600_302600_NS11hip_rocprim26transform_input_iterator_tIS6_NSA_6detail15normal_iteratorINSA_10device_ptrIfEEEE22summary_stats_unary_opIfEEEPS6_S6_23summary_stats_binary_opIfEEE10hipError_tPvRmT1_T2_T3_mT4_P12ihipStream_tbEUlT_E0_NS1_11comp_targetILNS1_3genE0ELNS1_11target_archE4294967295ELNS1_3gpuE0ELNS1_3repE0EEENS1_30default_config_static_selectorELNS0_4arch9wavefront6targetE0EEEvSR_.num_vgpr, 0
	.set _ZN7rocprim17ROCPRIM_400000_NS6detail17trampoline_kernelINS0_14default_configENS1_22reduce_config_selectorI18summary_stats_dataIfEEEZNS1_11reduce_implILb1ES3_N6thrust23THRUST_200600_302600_NS11hip_rocprim26transform_input_iterator_tIS6_NSA_6detail15normal_iteratorINSA_10device_ptrIfEEEE22summary_stats_unary_opIfEEEPS6_S6_23summary_stats_binary_opIfEEE10hipError_tPvRmT1_T2_T3_mT4_P12ihipStream_tbEUlT_E0_NS1_11comp_targetILNS1_3genE0ELNS1_11target_archE4294967295ELNS1_3gpuE0ELNS1_3repE0EEENS1_30default_config_static_selectorELNS0_4arch9wavefront6targetE0EEEvSR_.num_agpr, 0
	.set _ZN7rocprim17ROCPRIM_400000_NS6detail17trampoline_kernelINS0_14default_configENS1_22reduce_config_selectorI18summary_stats_dataIfEEEZNS1_11reduce_implILb1ES3_N6thrust23THRUST_200600_302600_NS11hip_rocprim26transform_input_iterator_tIS6_NSA_6detail15normal_iteratorINSA_10device_ptrIfEEEE22summary_stats_unary_opIfEEEPS6_S6_23summary_stats_binary_opIfEEE10hipError_tPvRmT1_T2_T3_mT4_P12ihipStream_tbEUlT_E0_NS1_11comp_targetILNS1_3genE0ELNS1_11target_archE4294967295ELNS1_3gpuE0ELNS1_3repE0EEENS1_30default_config_static_selectorELNS0_4arch9wavefront6targetE0EEEvSR_.numbered_sgpr, 0
	.set _ZN7rocprim17ROCPRIM_400000_NS6detail17trampoline_kernelINS0_14default_configENS1_22reduce_config_selectorI18summary_stats_dataIfEEEZNS1_11reduce_implILb1ES3_N6thrust23THRUST_200600_302600_NS11hip_rocprim26transform_input_iterator_tIS6_NSA_6detail15normal_iteratorINSA_10device_ptrIfEEEE22summary_stats_unary_opIfEEEPS6_S6_23summary_stats_binary_opIfEEE10hipError_tPvRmT1_T2_T3_mT4_P12ihipStream_tbEUlT_E0_NS1_11comp_targetILNS1_3genE0ELNS1_11target_archE4294967295ELNS1_3gpuE0ELNS1_3repE0EEENS1_30default_config_static_selectorELNS0_4arch9wavefront6targetE0EEEvSR_.num_named_barrier, 0
	.set _ZN7rocprim17ROCPRIM_400000_NS6detail17trampoline_kernelINS0_14default_configENS1_22reduce_config_selectorI18summary_stats_dataIfEEEZNS1_11reduce_implILb1ES3_N6thrust23THRUST_200600_302600_NS11hip_rocprim26transform_input_iterator_tIS6_NSA_6detail15normal_iteratorINSA_10device_ptrIfEEEE22summary_stats_unary_opIfEEEPS6_S6_23summary_stats_binary_opIfEEE10hipError_tPvRmT1_T2_T3_mT4_P12ihipStream_tbEUlT_E0_NS1_11comp_targetILNS1_3genE0ELNS1_11target_archE4294967295ELNS1_3gpuE0ELNS1_3repE0EEENS1_30default_config_static_selectorELNS0_4arch9wavefront6targetE0EEEvSR_.private_seg_size, 0
	.set _ZN7rocprim17ROCPRIM_400000_NS6detail17trampoline_kernelINS0_14default_configENS1_22reduce_config_selectorI18summary_stats_dataIfEEEZNS1_11reduce_implILb1ES3_N6thrust23THRUST_200600_302600_NS11hip_rocprim26transform_input_iterator_tIS6_NSA_6detail15normal_iteratorINSA_10device_ptrIfEEEE22summary_stats_unary_opIfEEEPS6_S6_23summary_stats_binary_opIfEEE10hipError_tPvRmT1_T2_T3_mT4_P12ihipStream_tbEUlT_E0_NS1_11comp_targetILNS1_3genE0ELNS1_11target_archE4294967295ELNS1_3gpuE0ELNS1_3repE0EEENS1_30default_config_static_selectorELNS0_4arch9wavefront6targetE0EEEvSR_.uses_vcc, 0
	.set _ZN7rocprim17ROCPRIM_400000_NS6detail17trampoline_kernelINS0_14default_configENS1_22reduce_config_selectorI18summary_stats_dataIfEEEZNS1_11reduce_implILb1ES3_N6thrust23THRUST_200600_302600_NS11hip_rocprim26transform_input_iterator_tIS6_NSA_6detail15normal_iteratorINSA_10device_ptrIfEEEE22summary_stats_unary_opIfEEEPS6_S6_23summary_stats_binary_opIfEEE10hipError_tPvRmT1_T2_T3_mT4_P12ihipStream_tbEUlT_E0_NS1_11comp_targetILNS1_3genE0ELNS1_11target_archE4294967295ELNS1_3gpuE0ELNS1_3repE0EEENS1_30default_config_static_selectorELNS0_4arch9wavefront6targetE0EEEvSR_.uses_flat_scratch, 0
	.set _ZN7rocprim17ROCPRIM_400000_NS6detail17trampoline_kernelINS0_14default_configENS1_22reduce_config_selectorI18summary_stats_dataIfEEEZNS1_11reduce_implILb1ES3_N6thrust23THRUST_200600_302600_NS11hip_rocprim26transform_input_iterator_tIS6_NSA_6detail15normal_iteratorINSA_10device_ptrIfEEEE22summary_stats_unary_opIfEEEPS6_S6_23summary_stats_binary_opIfEEE10hipError_tPvRmT1_T2_T3_mT4_P12ihipStream_tbEUlT_E0_NS1_11comp_targetILNS1_3genE0ELNS1_11target_archE4294967295ELNS1_3gpuE0ELNS1_3repE0EEENS1_30default_config_static_selectorELNS0_4arch9wavefront6targetE0EEEvSR_.has_dyn_sized_stack, 0
	.set _ZN7rocprim17ROCPRIM_400000_NS6detail17trampoline_kernelINS0_14default_configENS1_22reduce_config_selectorI18summary_stats_dataIfEEEZNS1_11reduce_implILb1ES3_N6thrust23THRUST_200600_302600_NS11hip_rocprim26transform_input_iterator_tIS6_NSA_6detail15normal_iteratorINSA_10device_ptrIfEEEE22summary_stats_unary_opIfEEEPS6_S6_23summary_stats_binary_opIfEEE10hipError_tPvRmT1_T2_T3_mT4_P12ihipStream_tbEUlT_E0_NS1_11comp_targetILNS1_3genE0ELNS1_11target_archE4294967295ELNS1_3gpuE0ELNS1_3repE0EEENS1_30default_config_static_selectorELNS0_4arch9wavefront6targetE0EEEvSR_.has_recursion, 0
	.set _ZN7rocprim17ROCPRIM_400000_NS6detail17trampoline_kernelINS0_14default_configENS1_22reduce_config_selectorI18summary_stats_dataIfEEEZNS1_11reduce_implILb1ES3_N6thrust23THRUST_200600_302600_NS11hip_rocprim26transform_input_iterator_tIS6_NSA_6detail15normal_iteratorINSA_10device_ptrIfEEEE22summary_stats_unary_opIfEEEPS6_S6_23summary_stats_binary_opIfEEE10hipError_tPvRmT1_T2_T3_mT4_P12ihipStream_tbEUlT_E0_NS1_11comp_targetILNS1_3genE0ELNS1_11target_archE4294967295ELNS1_3gpuE0ELNS1_3repE0EEENS1_30default_config_static_selectorELNS0_4arch9wavefront6targetE0EEEvSR_.has_indirect_call, 0
	.section	.AMDGPU.csdata,"",@progbits
; Kernel info:
; codeLenInByte = 0
; TotalNumSgprs: 0
; NumVgprs: 0
; ScratchSize: 0
; MemoryBound: 0
; FloatMode: 240
; IeeeMode: 1
; LDSByteSize: 0 bytes/workgroup (compile time only)
; SGPRBlocks: 0
; VGPRBlocks: 0
; NumSGPRsForWavesPerEU: 1
; NumVGPRsForWavesPerEU: 1
; Occupancy: 16
; WaveLimiterHint : 0
; COMPUTE_PGM_RSRC2:SCRATCH_EN: 0
; COMPUTE_PGM_RSRC2:USER_SGPR: 6
; COMPUTE_PGM_RSRC2:TRAP_HANDLER: 0
; COMPUTE_PGM_RSRC2:TGID_X_EN: 1
; COMPUTE_PGM_RSRC2:TGID_Y_EN: 0
; COMPUTE_PGM_RSRC2:TGID_Z_EN: 0
; COMPUTE_PGM_RSRC2:TIDIG_COMP_CNT: 0
	.section	.text._ZN7rocprim17ROCPRIM_400000_NS6detail17trampoline_kernelINS0_14default_configENS1_22reduce_config_selectorI18summary_stats_dataIfEEEZNS1_11reduce_implILb1ES3_N6thrust23THRUST_200600_302600_NS11hip_rocprim26transform_input_iterator_tIS6_NSA_6detail15normal_iteratorINSA_10device_ptrIfEEEE22summary_stats_unary_opIfEEEPS6_S6_23summary_stats_binary_opIfEEE10hipError_tPvRmT1_T2_T3_mT4_P12ihipStream_tbEUlT_E0_NS1_11comp_targetILNS1_3genE5ELNS1_11target_archE942ELNS1_3gpuE9ELNS1_3repE0EEENS1_30default_config_static_selectorELNS0_4arch9wavefront6targetE0EEEvSR_,"axG",@progbits,_ZN7rocprim17ROCPRIM_400000_NS6detail17trampoline_kernelINS0_14default_configENS1_22reduce_config_selectorI18summary_stats_dataIfEEEZNS1_11reduce_implILb1ES3_N6thrust23THRUST_200600_302600_NS11hip_rocprim26transform_input_iterator_tIS6_NSA_6detail15normal_iteratorINSA_10device_ptrIfEEEE22summary_stats_unary_opIfEEEPS6_S6_23summary_stats_binary_opIfEEE10hipError_tPvRmT1_T2_T3_mT4_P12ihipStream_tbEUlT_E0_NS1_11comp_targetILNS1_3genE5ELNS1_11target_archE942ELNS1_3gpuE9ELNS1_3repE0EEENS1_30default_config_static_selectorELNS0_4arch9wavefront6targetE0EEEvSR_,comdat
	.protected	_ZN7rocprim17ROCPRIM_400000_NS6detail17trampoline_kernelINS0_14default_configENS1_22reduce_config_selectorI18summary_stats_dataIfEEEZNS1_11reduce_implILb1ES3_N6thrust23THRUST_200600_302600_NS11hip_rocprim26transform_input_iterator_tIS6_NSA_6detail15normal_iteratorINSA_10device_ptrIfEEEE22summary_stats_unary_opIfEEEPS6_S6_23summary_stats_binary_opIfEEE10hipError_tPvRmT1_T2_T3_mT4_P12ihipStream_tbEUlT_E0_NS1_11comp_targetILNS1_3genE5ELNS1_11target_archE942ELNS1_3gpuE9ELNS1_3repE0EEENS1_30default_config_static_selectorELNS0_4arch9wavefront6targetE0EEEvSR_ ; -- Begin function _ZN7rocprim17ROCPRIM_400000_NS6detail17trampoline_kernelINS0_14default_configENS1_22reduce_config_selectorI18summary_stats_dataIfEEEZNS1_11reduce_implILb1ES3_N6thrust23THRUST_200600_302600_NS11hip_rocprim26transform_input_iterator_tIS6_NSA_6detail15normal_iteratorINSA_10device_ptrIfEEEE22summary_stats_unary_opIfEEEPS6_S6_23summary_stats_binary_opIfEEE10hipError_tPvRmT1_T2_T3_mT4_P12ihipStream_tbEUlT_E0_NS1_11comp_targetILNS1_3genE5ELNS1_11target_archE942ELNS1_3gpuE9ELNS1_3repE0EEENS1_30default_config_static_selectorELNS0_4arch9wavefront6targetE0EEEvSR_
	.globl	_ZN7rocprim17ROCPRIM_400000_NS6detail17trampoline_kernelINS0_14default_configENS1_22reduce_config_selectorI18summary_stats_dataIfEEEZNS1_11reduce_implILb1ES3_N6thrust23THRUST_200600_302600_NS11hip_rocprim26transform_input_iterator_tIS6_NSA_6detail15normal_iteratorINSA_10device_ptrIfEEEE22summary_stats_unary_opIfEEEPS6_S6_23summary_stats_binary_opIfEEE10hipError_tPvRmT1_T2_T3_mT4_P12ihipStream_tbEUlT_E0_NS1_11comp_targetILNS1_3genE5ELNS1_11target_archE942ELNS1_3gpuE9ELNS1_3repE0EEENS1_30default_config_static_selectorELNS0_4arch9wavefront6targetE0EEEvSR_
	.p2align	8
	.type	_ZN7rocprim17ROCPRIM_400000_NS6detail17trampoline_kernelINS0_14default_configENS1_22reduce_config_selectorI18summary_stats_dataIfEEEZNS1_11reduce_implILb1ES3_N6thrust23THRUST_200600_302600_NS11hip_rocprim26transform_input_iterator_tIS6_NSA_6detail15normal_iteratorINSA_10device_ptrIfEEEE22summary_stats_unary_opIfEEEPS6_S6_23summary_stats_binary_opIfEEE10hipError_tPvRmT1_T2_T3_mT4_P12ihipStream_tbEUlT_E0_NS1_11comp_targetILNS1_3genE5ELNS1_11target_archE942ELNS1_3gpuE9ELNS1_3repE0EEENS1_30default_config_static_selectorELNS0_4arch9wavefront6targetE0EEEvSR_,@function
_ZN7rocprim17ROCPRIM_400000_NS6detail17trampoline_kernelINS0_14default_configENS1_22reduce_config_selectorI18summary_stats_dataIfEEEZNS1_11reduce_implILb1ES3_N6thrust23THRUST_200600_302600_NS11hip_rocprim26transform_input_iterator_tIS6_NSA_6detail15normal_iteratorINSA_10device_ptrIfEEEE22summary_stats_unary_opIfEEEPS6_S6_23summary_stats_binary_opIfEEE10hipError_tPvRmT1_T2_T3_mT4_P12ihipStream_tbEUlT_E0_NS1_11comp_targetILNS1_3genE5ELNS1_11target_archE942ELNS1_3gpuE9ELNS1_3repE0EEENS1_30default_config_static_selectorELNS0_4arch9wavefront6targetE0EEEvSR_: ; @_ZN7rocprim17ROCPRIM_400000_NS6detail17trampoline_kernelINS0_14default_configENS1_22reduce_config_selectorI18summary_stats_dataIfEEEZNS1_11reduce_implILb1ES3_N6thrust23THRUST_200600_302600_NS11hip_rocprim26transform_input_iterator_tIS6_NSA_6detail15normal_iteratorINSA_10device_ptrIfEEEE22summary_stats_unary_opIfEEEPS6_S6_23summary_stats_binary_opIfEEE10hipError_tPvRmT1_T2_T3_mT4_P12ihipStream_tbEUlT_E0_NS1_11comp_targetILNS1_3genE5ELNS1_11target_archE942ELNS1_3gpuE9ELNS1_3repE0EEENS1_30default_config_static_selectorELNS0_4arch9wavefront6targetE0EEEvSR_
; %bb.0:
	.section	.rodata,"a",@progbits
	.p2align	6, 0x0
	.amdhsa_kernel _ZN7rocprim17ROCPRIM_400000_NS6detail17trampoline_kernelINS0_14default_configENS1_22reduce_config_selectorI18summary_stats_dataIfEEEZNS1_11reduce_implILb1ES3_N6thrust23THRUST_200600_302600_NS11hip_rocprim26transform_input_iterator_tIS6_NSA_6detail15normal_iteratorINSA_10device_ptrIfEEEE22summary_stats_unary_opIfEEEPS6_S6_23summary_stats_binary_opIfEEE10hipError_tPvRmT1_T2_T3_mT4_P12ihipStream_tbEUlT_E0_NS1_11comp_targetILNS1_3genE5ELNS1_11target_archE942ELNS1_3gpuE9ELNS1_3repE0EEENS1_30default_config_static_selectorELNS0_4arch9wavefront6targetE0EEEvSR_
		.amdhsa_group_segment_fixed_size 0
		.amdhsa_private_segment_fixed_size 0
		.amdhsa_kernarg_size 88
		.amdhsa_user_sgpr_count 6
		.amdhsa_user_sgpr_private_segment_buffer 1
		.amdhsa_user_sgpr_dispatch_ptr 0
		.amdhsa_user_sgpr_queue_ptr 0
		.amdhsa_user_sgpr_kernarg_segment_ptr 1
		.amdhsa_user_sgpr_dispatch_id 0
		.amdhsa_user_sgpr_flat_scratch_init 0
		.amdhsa_user_sgpr_private_segment_size 0
		.amdhsa_wavefront_size32 1
		.amdhsa_uses_dynamic_stack 0
		.amdhsa_system_sgpr_private_segment_wavefront_offset 0
		.amdhsa_system_sgpr_workgroup_id_x 1
		.amdhsa_system_sgpr_workgroup_id_y 0
		.amdhsa_system_sgpr_workgroup_id_z 0
		.amdhsa_system_sgpr_workgroup_info 0
		.amdhsa_system_vgpr_workitem_id 0
		.amdhsa_next_free_vgpr 1
		.amdhsa_next_free_sgpr 1
		.amdhsa_reserve_vcc 0
		.amdhsa_reserve_flat_scratch 0
		.amdhsa_float_round_mode_32 0
		.amdhsa_float_round_mode_16_64 0
		.amdhsa_float_denorm_mode_32 3
		.amdhsa_float_denorm_mode_16_64 3
		.amdhsa_dx10_clamp 1
		.amdhsa_ieee_mode 1
		.amdhsa_fp16_overflow 0
		.amdhsa_workgroup_processor_mode 1
		.amdhsa_memory_ordered 1
		.amdhsa_forward_progress 1
		.amdhsa_shared_vgpr_count 0
		.amdhsa_exception_fp_ieee_invalid_op 0
		.amdhsa_exception_fp_denorm_src 0
		.amdhsa_exception_fp_ieee_div_zero 0
		.amdhsa_exception_fp_ieee_overflow 0
		.amdhsa_exception_fp_ieee_underflow 0
		.amdhsa_exception_fp_ieee_inexact 0
		.amdhsa_exception_int_div_zero 0
	.end_amdhsa_kernel
	.section	.text._ZN7rocprim17ROCPRIM_400000_NS6detail17trampoline_kernelINS0_14default_configENS1_22reduce_config_selectorI18summary_stats_dataIfEEEZNS1_11reduce_implILb1ES3_N6thrust23THRUST_200600_302600_NS11hip_rocprim26transform_input_iterator_tIS6_NSA_6detail15normal_iteratorINSA_10device_ptrIfEEEE22summary_stats_unary_opIfEEEPS6_S6_23summary_stats_binary_opIfEEE10hipError_tPvRmT1_T2_T3_mT4_P12ihipStream_tbEUlT_E0_NS1_11comp_targetILNS1_3genE5ELNS1_11target_archE942ELNS1_3gpuE9ELNS1_3repE0EEENS1_30default_config_static_selectorELNS0_4arch9wavefront6targetE0EEEvSR_,"axG",@progbits,_ZN7rocprim17ROCPRIM_400000_NS6detail17trampoline_kernelINS0_14default_configENS1_22reduce_config_selectorI18summary_stats_dataIfEEEZNS1_11reduce_implILb1ES3_N6thrust23THRUST_200600_302600_NS11hip_rocprim26transform_input_iterator_tIS6_NSA_6detail15normal_iteratorINSA_10device_ptrIfEEEE22summary_stats_unary_opIfEEEPS6_S6_23summary_stats_binary_opIfEEE10hipError_tPvRmT1_T2_T3_mT4_P12ihipStream_tbEUlT_E0_NS1_11comp_targetILNS1_3genE5ELNS1_11target_archE942ELNS1_3gpuE9ELNS1_3repE0EEENS1_30default_config_static_selectorELNS0_4arch9wavefront6targetE0EEEvSR_,comdat
.Lfunc_end19:
	.size	_ZN7rocprim17ROCPRIM_400000_NS6detail17trampoline_kernelINS0_14default_configENS1_22reduce_config_selectorI18summary_stats_dataIfEEEZNS1_11reduce_implILb1ES3_N6thrust23THRUST_200600_302600_NS11hip_rocprim26transform_input_iterator_tIS6_NSA_6detail15normal_iteratorINSA_10device_ptrIfEEEE22summary_stats_unary_opIfEEEPS6_S6_23summary_stats_binary_opIfEEE10hipError_tPvRmT1_T2_T3_mT4_P12ihipStream_tbEUlT_E0_NS1_11comp_targetILNS1_3genE5ELNS1_11target_archE942ELNS1_3gpuE9ELNS1_3repE0EEENS1_30default_config_static_selectorELNS0_4arch9wavefront6targetE0EEEvSR_, .Lfunc_end19-_ZN7rocprim17ROCPRIM_400000_NS6detail17trampoline_kernelINS0_14default_configENS1_22reduce_config_selectorI18summary_stats_dataIfEEEZNS1_11reduce_implILb1ES3_N6thrust23THRUST_200600_302600_NS11hip_rocprim26transform_input_iterator_tIS6_NSA_6detail15normal_iteratorINSA_10device_ptrIfEEEE22summary_stats_unary_opIfEEEPS6_S6_23summary_stats_binary_opIfEEE10hipError_tPvRmT1_T2_T3_mT4_P12ihipStream_tbEUlT_E0_NS1_11comp_targetILNS1_3genE5ELNS1_11target_archE942ELNS1_3gpuE9ELNS1_3repE0EEENS1_30default_config_static_selectorELNS0_4arch9wavefront6targetE0EEEvSR_
                                        ; -- End function
	.set _ZN7rocprim17ROCPRIM_400000_NS6detail17trampoline_kernelINS0_14default_configENS1_22reduce_config_selectorI18summary_stats_dataIfEEEZNS1_11reduce_implILb1ES3_N6thrust23THRUST_200600_302600_NS11hip_rocprim26transform_input_iterator_tIS6_NSA_6detail15normal_iteratorINSA_10device_ptrIfEEEE22summary_stats_unary_opIfEEEPS6_S6_23summary_stats_binary_opIfEEE10hipError_tPvRmT1_T2_T3_mT4_P12ihipStream_tbEUlT_E0_NS1_11comp_targetILNS1_3genE5ELNS1_11target_archE942ELNS1_3gpuE9ELNS1_3repE0EEENS1_30default_config_static_selectorELNS0_4arch9wavefront6targetE0EEEvSR_.num_vgpr, 0
	.set _ZN7rocprim17ROCPRIM_400000_NS6detail17trampoline_kernelINS0_14default_configENS1_22reduce_config_selectorI18summary_stats_dataIfEEEZNS1_11reduce_implILb1ES3_N6thrust23THRUST_200600_302600_NS11hip_rocprim26transform_input_iterator_tIS6_NSA_6detail15normal_iteratorINSA_10device_ptrIfEEEE22summary_stats_unary_opIfEEEPS6_S6_23summary_stats_binary_opIfEEE10hipError_tPvRmT1_T2_T3_mT4_P12ihipStream_tbEUlT_E0_NS1_11comp_targetILNS1_3genE5ELNS1_11target_archE942ELNS1_3gpuE9ELNS1_3repE0EEENS1_30default_config_static_selectorELNS0_4arch9wavefront6targetE0EEEvSR_.num_agpr, 0
	.set _ZN7rocprim17ROCPRIM_400000_NS6detail17trampoline_kernelINS0_14default_configENS1_22reduce_config_selectorI18summary_stats_dataIfEEEZNS1_11reduce_implILb1ES3_N6thrust23THRUST_200600_302600_NS11hip_rocprim26transform_input_iterator_tIS6_NSA_6detail15normal_iteratorINSA_10device_ptrIfEEEE22summary_stats_unary_opIfEEEPS6_S6_23summary_stats_binary_opIfEEE10hipError_tPvRmT1_T2_T3_mT4_P12ihipStream_tbEUlT_E0_NS1_11comp_targetILNS1_3genE5ELNS1_11target_archE942ELNS1_3gpuE9ELNS1_3repE0EEENS1_30default_config_static_selectorELNS0_4arch9wavefront6targetE0EEEvSR_.numbered_sgpr, 0
	.set _ZN7rocprim17ROCPRIM_400000_NS6detail17trampoline_kernelINS0_14default_configENS1_22reduce_config_selectorI18summary_stats_dataIfEEEZNS1_11reduce_implILb1ES3_N6thrust23THRUST_200600_302600_NS11hip_rocprim26transform_input_iterator_tIS6_NSA_6detail15normal_iteratorINSA_10device_ptrIfEEEE22summary_stats_unary_opIfEEEPS6_S6_23summary_stats_binary_opIfEEE10hipError_tPvRmT1_T2_T3_mT4_P12ihipStream_tbEUlT_E0_NS1_11comp_targetILNS1_3genE5ELNS1_11target_archE942ELNS1_3gpuE9ELNS1_3repE0EEENS1_30default_config_static_selectorELNS0_4arch9wavefront6targetE0EEEvSR_.num_named_barrier, 0
	.set _ZN7rocprim17ROCPRIM_400000_NS6detail17trampoline_kernelINS0_14default_configENS1_22reduce_config_selectorI18summary_stats_dataIfEEEZNS1_11reduce_implILb1ES3_N6thrust23THRUST_200600_302600_NS11hip_rocprim26transform_input_iterator_tIS6_NSA_6detail15normal_iteratorINSA_10device_ptrIfEEEE22summary_stats_unary_opIfEEEPS6_S6_23summary_stats_binary_opIfEEE10hipError_tPvRmT1_T2_T3_mT4_P12ihipStream_tbEUlT_E0_NS1_11comp_targetILNS1_3genE5ELNS1_11target_archE942ELNS1_3gpuE9ELNS1_3repE0EEENS1_30default_config_static_selectorELNS0_4arch9wavefront6targetE0EEEvSR_.private_seg_size, 0
	.set _ZN7rocprim17ROCPRIM_400000_NS6detail17trampoline_kernelINS0_14default_configENS1_22reduce_config_selectorI18summary_stats_dataIfEEEZNS1_11reduce_implILb1ES3_N6thrust23THRUST_200600_302600_NS11hip_rocprim26transform_input_iterator_tIS6_NSA_6detail15normal_iteratorINSA_10device_ptrIfEEEE22summary_stats_unary_opIfEEEPS6_S6_23summary_stats_binary_opIfEEE10hipError_tPvRmT1_T2_T3_mT4_P12ihipStream_tbEUlT_E0_NS1_11comp_targetILNS1_3genE5ELNS1_11target_archE942ELNS1_3gpuE9ELNS1_3repE0EEENS1_30default_config_static_selectorELNS0_4arch9wavefront6targetE0EEEvSR_.uses_vcc, 0
	.set _ZN7rocprim17ROCPRIM_400000_NS6detail17trampoline_kernelINS0_14default_configENS1_22reduce_config_selectorI18summary_stats_dataIfEEEZNS1_11reduce_implILb1ES3_N6thrust23THRUST_200600_302600_NS11hip_rocprim26transform_input_iterator_tIS6_NSA_6detail15normal_iteratorINSA_10device_ptrIfEEEE22summary_stats_unary_opIfEEEPS6_S6_23summary_stats_binary_opIfEEE10hipError_tPvRmT1_T2_T3_mT4_P12ihipStream_tbEUlT_E0_NS1_11comp_targetILNS1_3genE5ELNS1_11target_archE942ELNS1_3gpuE9ELNS1_3repE0EEENS1_30default_config_static_selectorELNS0_4arch9wavefront6targetE0EEEvSR_.uses_flat_scratch, 0
	.set _ZN7rocprim17ROCPRIM_400000_NS6detail17trampoline_kernelINS0_14default_configENS1_22reduce_config_selectorI18summary_stats_dataIfEEEZNS1_11reduce_implILb1ES3_N6thrust23THRUST_200600_302600_NS11hip_rocprim26transform_input_iterator_tIS6_NSA_6detail15normal_iteratorINSA_10device_ptrIfEEEE22summary_stats_unary_opIfEEEPS6_S6_23summary_stats_binary_opIfEEE10hipError_tPvRmT1_T2_T3_mT4_P12ihipStream_tbEUlT_E0_NS1_11comp_targetILNS1_3genE5ELNS1_11target_archE942ELNS1_3gpuE9ELNS1_3repE0EEENS1_30default_config_static_selectorELNS0_4arch9wavefront6targetE0EEEvSR_.has_dyn_sized_stack, 0
	.set _ZN7rocprim17ROCPRIM_400000_NS6detail17trampoline_kernelINS0_14default_configENS1_22reduce_config_selectorI18summary_stats_dataIfEEEZNS1_11reduce_implILb1ES3_N6thrust23THRUST_200600_302600_NS11hip_rocprim26transform_input_iterator_tIS6_NSA_6detail15normal_iteratorINSA_10device_ptrIfEEEE22summary_stats_unary_opIfEEEPS6_S6_23summary_stats_binary_opIfEEE10hipError_tPvRmT1_T2_T3_mT4_P12ihipStream_tbEUlT_E0_NS1_11comp_targetILNS1_3genE5ELNS1_11target_archE942ELNS1_3gpuE9ELNS1_3repE0EEENS1_30default_config_static_selectorELNS0_4arch9wavefront6targetE0EEEvSR_.has_recursion, 0
	.set _ZN7rocprim17ROCPRIM_400000_NS6detail17trampoline_kernelINS0_14default_configENS1_22reduce_config_selectorI18summary_stats_dataIfEEEZNS1_11reduce_implILb1ES3_N6thrust23THRUST_200600_302600_NS11hip_rocprim26transform_input_iterator_tIS6_NSA_6detail15normal_iteratorINSA_10device_ptrIfEEEE22summary_stats_unary_opIfEEEPS6_S6_23summary_stats_binary_opIfEEE10hipError_tPvRmT1_T2_T3_mT4_P12ihipStream_tbEUlT_E0_NS1_11comp_targetILNS1_3genE5ELNS1_11target_archE942ELNS1_3gpuE9ELNS1_3repE0EEENS1_30default_config_static_selectorELNS0_4arch9wavefront6targetE0EEEvSR_.has_indirect_call, 0
	.section	.AMDGPU.csdata,"",@progbits
; Kernel info:
; codeLenInByte = 0
; TotalNumSgprs: 0
; NumVgprs: 0
; ScratchSize: 0
; MemoryBound: 0
; FloatMode: 240
; IeeeMode: 1
; LDSByteSize: 0 bytes/workgroup (compile time only)
; SGPRBlocks: 0
; VGPRBlocks: 0
; NumSGPRsForWavesPerEU: 1
; NumVGPRsForWavesPerEU: 1
; Occupancy: 16
; WaveLimiterHint : 0
; COMPUTE_PGM_RSRC2:SCRATCH_EN: 0
; COMPUTE_PGM_RSRC2:USER_SGPR: 6
; COMPUTE_PGM_RSRC2:TRAP_HANDLER: 0
; COMPUTE_PGM_RSRC2:TGID_X_EN: 1
; COMPUTE_PGM_RSRC2:TGID_Y_EN: 0
; COMPUTE_PGM_RSRC2:TGID_Z_EN: 0
; COMPUTE_PGM_RSRC2:TIDIG_COMP_CNT: 0
	.section	.text._ZN7rocprim17ROCPRIM_400000_NS6detail17trampoline_kernelINS0_14default_configENS1_22reduce_config_selectorI18summary_stats_dataIfEEEZNS1_11reduce_implILb1ES3_N6thrust23THRUST_200600_302600_NS11hip_rocprim26transform_input_iterator_tIS6_NSA_6detail15normal_iteratorINSA_10device_ptrIfEEEE22summary_stats_unary_opIfEEEPS6_S6_23summary_stats_binary_opIfEEE10hipError_tPvRmT1_T2_T3_mT4_P12ihipStream_tbEUlT_E0_NS1_11comp_targetILNS1_3genE4ELNS1_11target_archE910ELNS1_3gpuE8ELNS1_3repE0EEENS1_30default_config_static_selectorELNS0_4arch9wavefront6targetE0EEEvSR_,"axG",@progbits,_ZN7rocprim17ROCPRIM_400000_NS6detail17trampoline_kernelINS0_14default_configENS1_22reduce_config_selectorI18summary_stats_dataIfEEEZNS1_11reduce_implILb1ES3_N6thrust23THRUST_200600_302600_NS11hip_rocprim26transform_input_iterator_tIS6_NSA_6detail15normal_iteratorINSA_10device_ptrIfEEEE22summary_stats_unary_opIfEEEPS6_S6_23summary_stats_binary_opIfEEE10hipError_tPvRmT1_T2_T3_mT4_P12ihipStream_tbEUlT_E0_NS1_11comp_targetILNS1_3genE4ELNS1_11target_archE910ELNS1_3gpuE8ELNS1_3repE0EEENS1_30default_config_static_selectorELNS0_4arch9wavefront6targetE0EEEvSR_,comdat
	.protected	_ZN7rocprim17ROCPRIM_400000_NS6detail17trampoline_kernelINS0_14default_configENS1_22reduce_config_selectorI18summary_stats_dataIfEEEZNS1_11reduce_implILb1ES3_N6thrust23THRUST_200600_302600_NS11hip_rocprim26transform_input_iterator_tIS6_NSA_6detail15normal_iteratorINSA_10device_ptrIfEEEE22summary_stats_unary_opIfEEEPS6_S6_23summary_stats_binary_opIfEEE10hipError_tPvRmT1_T2_T3_mT4_P12ihipStream_tbEUlT_E0_NS1_11comp_targetILNS1_3genE4ELNS1_11target_archE910ELNS1_3gpuE8ELNS1_3repE0EEENS1_30default_config_static_selectorELNS0_4arch9wavefront6targetE0EEEvSR_ ; -- Begin function _ZN7rocprim17ROCPRIM_400000_NS6detail17trampoline_kernelINS0_14default_configENS1_22reduce_config_selectorI18summary_stats_dataIfEEEZNS1_11reduce_implILb1ES3_N6thrust23THRUST_200600_302600_NS11hip_rocprim26transform_input_iterator_tIS6_NSA_6detail15normal_iteratorINSA_10device_ptrIfEEEE22summary_stats_unary_opIfEEEPS6_S6_23summary_stats_binary_opIfEEE10hipError_tPvRmT1_T2_T3_mT4_P12ihipStream_tbEUlT_E0_NS1_11comp_targetILNS1_3genE4ELNS1_11target_archE910ELNS1_3gpuE8ELNS1_3repE0EEENS1_30default_config_static_selectorELNS0_4arch9wavefront6targetE0EEEvSR_
	.globl	_ZN7rocprim17ROCPRIM_400000_NS6detail17trampoline_kernelINS0_14default_configENS1_22reduce_config_selectorI18summary_stats_dataIfEEEZNS1_11reduce_implILb1ES3_N6thrust23THRUST_200600_302600_NS11hip_rocprim26transform_input_iterator_tIS6_NSA_6detail15normal_iteratorINSA_10device_ptrIfEEEE22summary_stats_unary_opIfEEEPS6_S6_23summary_stats_binary_opIfEEE10hipError_tPvRmT1_T2_T3_mT4_P12ihipStream_tbEUlT_E0_NS1_11comp_targetILNS1_3genE4ELNS1_11target_archE910ELNS1_3gpuE8ELNS1_3repE0EEENS1_30default_config_static_selectorELNS0_4arch9wavefront6targetE0EEEvSR_
	.p2align	8
	.type	_ZN7rocprim17ROCPRIM_400000_NS6detail17trampoline_kernelINS0_14default_configENS1_22reduce_config_selectorI18summary_stats_dataIfEEEZNS1_11reduce_implILb1ES3_N6thrust23THRUST_200600_302600_NS11hip_rocprim26transform_input_iterator_tIS6_NSA_6detail15normal_iteratorINSA_10device_ptrIfEEEE22summary_stats_unary_opIfEEEPS6_S6_23summary_stats_binary_opIfEEE10hipError_tPvRmT1_T2_T3_mT4_P12ihipStream_tbEUlT_E0_NS1_11comp_targetILNS1_3genE4ELNS1_11target_archE910ELNS1_3gpuE8ELNS1_3repE0EEENS1_30default_config_static_selectorELNS0_4arch9wavefront6targetE0EEEvSR_,@function
_ZN7rocprim17ROCPRIM_400000_NS6detail17trampoline_kernelINS0_14default_configENS1_22reduce_config_selectorI18summary_stats_dataIfEEEZNS1_11reduce_implILb1ES3_N6thrust23THRUST_200600_302600_NS11hip_rocprim26transform_input_iterator_tIS6_NSA_6detail15normal_iteratorINSA_10device_ptrIfEEEE22summary_stats_unary_opIfEEEPS6_S6_23summary_stats_binary_opIfEEE10hipError_tPvRmT1_T2_T3_mT4_P12ihipStream_tbEUlT_E0_NS1_11comp_targetILNS1_3genE4ELNS1_11target_archE910ELNS1_3gpuE8ELNS1_3repE0EEENS1_30default_config_static_selectorELNS0_4arch9wavefront6targetE0EEEvSR_: ; @_ZN7rocprim17ROCPRIM_400000_NS6detail17trampoline_kernelINS0_14default_configENS1_22reduce_config_selectorI18summary_stats_dataIfEEEZNS1_11reduce_implILb1ES3_N6thrust23THRUST_200600_302600_NS11hip_rocprim26transform_input_iterator_tIS6_NSA_6detail15normal_iteratorINSA_10device_ptrIfEEEE22summary_stats_unary_opIfEEEPS6_S6_23summary_stats_binary_opIfEEE10hipError_tPvRmT1_T2_T3_mT4_P12ihipStream_tbEUlT_E0_NS1_11comp_targetILNS1_3genE4ELNS1_11target_archE910ELNS1_3gpuE8ELNS1_3repE0EEENS1_30default_config_static_selectorELNS0_4arch9wavefront6targetE0EEEvSR_
; %bb.0:
	.section	.rodata,"a",@progbits
	.p2align	6, 0x0
	.amdhsa_kernel _ZN7rocprim17ROCPRIM_400000_NS6detail17trampoline_kernelINS0_14default_configENS1_22reduce_config_selectorI18summary_stats_dataIfEEEZNS1_11reduce_implILb1ES3_N6thrust23THRUST_200600_302600_NS11hip_rocprim26transform_input_iterator_tIS6_NSA_6detail15normal_iteratorINSA_10device_ptrIfEEEE22summary_stats_unary_opIfEEEPS6_S6_23summary_stats_binary_opIfEEE10hipError_tPvRmT1_T2_T3_mT4_P12ihipStream_tbEUlT_E0_NS1_11comp_targetILNS1_3genE4ELNS1_11target_archE910ELNS1_3gpuE8ELNS1_3repE0EEENS1_30default_config_static_selectorELNS0_4arch9wavefront6targetE0EEEvSR_
		.amdhsa_group_segment_fixed_size 0
		.amdhsa_private_segment_fixed_size 0
		.amdhsa_kernarg_size 88
		.amdhsa_user_sgpr_count 6
		.amdhsa_user_sgpr_private_segment_buffer 1
		.amdhsa_user_sgpr_dispatch_ptr 0
		.amdhsa_user_sgpr_queue_ptr 0
		.amdhsa_user_sgpr_kernarg_segment_ptr 1
		.amdhsa_user_sgpr_dispatch_id 0
		.amdhsa_user_sgpr_flat_scratch_init 0
		.amdhsa_user_sgpr_private_segment_size 0
		.amdhsa_wavefront_size32 1
		.amdhsa_uses_dynamic_stack 0
		.amdhsa_system_sgpr_private_segment_wavefront_offset 0
		.amdhsa_system_sgpr_workgroup_id_x 1
		.amdhsa_system_sgpr_workgroup_id_y 0
		.amdhsa_system_sgpr_workgroup_id_z 0
		.amdhsa_system_sgpr_workgroup_info 0
		.amdhsa_system_vgpr_workitem_id 0
		.amdhsa_next_free_vgpr 1
		.amdhsa_next_free_sgpr 1
		.amdhsa_reserve_vcc 0
		.amdhsa_reserve_flat_scratch 0
		.amdhsa_float_round_mode_32 0
		.amdhsa_float_round_mode_16_64 0
		.amdhsa_float_denorm_mode_32 3
		.amdhsa_float_denorm_mode_16_64 3
		.amdhsa_dx10_clamp 1
		.amdhsa_ieee_mode 1
		.amdhsa_fp16_overflow 0
		.amdhsa_workgroup_processor_mode 1
		.amdhsa_memory_ordered 1
		.amdhsa_forward_progress 1
		.amdhsa_shared_vgpr_count 0
		.amdhsa_exception_fp_ieee_invalid_op 0
		.amdhsa_exception_fp_denorm_src 0
		.amdhsa_exception_fp_ieee_div_zero 0
		.amdhsa_exception_fp_ieee_overflow 0
		.amdhsa_exception_fp_ieee_underflow 0
		.amdhsa_exception_fp_ieee_inexact 0
		.amdhsa_exception_int_div_zero 0
	.end_amdhsa_kernel
	.section	.text._ZN7rocprim17ROCPRIM_400000_NS6detail17trampoline_kernelINS0_14default_configENS1_22reduce_config_selectorI18summary_stats_dataIfEEEZNS1_11reduce_implILb1ES3_N6thrust23THRUST_200600_302600_NS11hip_rocprim26transform_input_iterator_tIS6_NSA_6detail15normal_iteratorINSA_10device_ptrIfEEEE22summary_stats_unary_opIfEEEPS6_S6_23summary_stats_binary_opIfEEE10hipError_tPvRmT1_T2_T3_mT4_P12ihipStream_tbEUlT_E0_NS1_11comp_targetILNS1_3genE4ELNS1_11target_archE910ELNS1_3gpuE8ELNS1_3repE0EEENS1_30default_config_static_selectorELNS0_4arch9wavefront6targetE0EEEvSR_,"axG",@progbits,_ZN7rocprim17ROCPRIM_400000_NS6detail17trampoline_kernelINS0_14default_configENS1_22reduce_config_selectorI18summary_stats_dataIfEEEZNS1_11reduce_implILb1ES3_N6thrust23THRUST_200600_302600_NS11hip_rocprim26transform_input_iterator_tIS6_NSA_6detail15normal_iteratorINSA_10device_ptrIfEEEE22summary_stats_unary_opIfEEEPS6_S6_23summary_stats_binary_opIfEEE10hipError_tPvRmT1_T2_T3_mT4_P12ihipStream_tbEUlT_E0_NS1_11comp_targetILNS1_3genE4ELNS1_11target_archE910ELNS1_3gpuE8ELNS1_3repE0EEENS1_30default_config_static_selectorELNS0_4arch9wavefront6targetE0EEEvSR_,comdat
.Lfunc_end20:
	.size	_ZN7rocprim17ROCPRIM_400000_NS6detail17trampoline_kernelINS0_14default_configENS1_22reduce_config_selectorI18summary_stats_dataIfEEEZNS1_11reduce_implILb1ES3_N6thrust23THRUST_200600_302600_NS11hip_rocprim26transform_input_iterator_tIS6_NSA_6detail15normal_iteratorINSA_10device_ptrIfEEEE22summary_stats_unary_opIfEEEPS6_S6_23summary_stats_binary_opIfEEE10hipError_tPvRmT1_T2_T3_mT4_P12ihipStream_tbEUlT_E0_NS1_11comp_targetILNS1_3genE4ELNS1_11target_archE910ELNS1_3gpuE8ELNS1_3repE0EEENS1_30default_config_static_selectorELNS0_4arch9wavefront6targetE0EEEvSR_, .Lfunc_end20-_ZN7rocprim17ROCPRIM_400000_NS6detail17trampoline_kernelINS0_14default_configENS1_22reduce_config_selectorI18summary_stats_dataIfEEEZNS1_11reduce_implILb1ES3_N6thrust23THRUST_200600_302600_NS11hip_rocprim26transform_input_iterator_tIS6_NSA_6detail15normal_iteratorINSA_10device_ptrIfEEEE22summary_stats_unary_opIfEEEPS6_S6_23summary_stats_binary_opIfEEE10hipError_tPvRmT1_T2_T3_mT4_P12ihipStream_tbEUlT_E0_NS1_11comp_targetILNS1_3genE4ELNS1_11target_archE910ELNS1_3gpuE8ELNS1_3repE0EEENS1_30default_config_static_selectorELNS0_4arch9wavefront6targetE0EEEvSR_
                                        ; -- End function
	.set _ZN7rocprim17ROCPRIM_400000_NS6detail17trampoline_kernelINS0_14default_configENS1_22reduce_config_selectorI18summary_stats_dataIfEEEZNS1_11reduce_implILb1ES3_N6thrust23THRUST_200600_302600_NS11hip_rocprim26transform_input_iterator_tIS6_NSA_6detail15normal_iteratorINSA_10device_ptrIfEEEE22summary_stats_unary_opIfEEEPS6_S6_23summary_stats_binary_opIfEEE10hipError_tPvRmT1_T2_T3_mT4_P12ihipStream_tbEUlT_E0_NS1_11comp_targetILNS1_3genE4ELNS1_11target_archE910ELNS1_3gpuE8ELNS1_3repE0EEENS1_30default_config_static_selectorELNS0_4arch9wavefront6targetE0EEEvSR_.num_vgpr, 0
	.set _ZN7rocprim17ROCPRIM_400000_NS6detail17trampoline_kernelINS0_14default_configENS1_22reduce_config_selectorI18summary_stats_dataIfEEEZNS1_11reduce_implILb1ES3_N6thrust23THRUST_200600_302600_NS11hip_rocprim26transform_input_iterator_tIS6_NSA_6detail15normal_iteratorINSA_10device_ptrIfEEEE22summary_stats_unary_opIfEEEPS6_S6_23summary_stats_binary_opIfEEE10hipError_tPvRmT1_T2_T3_mT4_P12ihipStream_tbEUlT_E0_NS1_11comp_targetILNS1_3genE4ELNS1_11target_archE910ELNS1_3gpuE8ELNS1_3repE0EEENS1_30default_config_static_selectorELNS0_4arch9wavefront6targetE0EEEvSR_.num_agpr, 0
	.set _ZN7rocprim17ROCPRIM_400000_NS6detail17trampoline_kernelINS0_14default_configENS1_22reduce_config_selectorI18summary_stats_dataIfEEEZNS1_11reduce_implILb1ES3_N6thrust23THRUST_200600_302600_NS11hip_rocprim26transform_input_iterator_tIS6_NSA_6detail15normal_iteratorINSA_10device_ptrIfEEEE22summary_stats_unary_opIfEEEPS6_S6_23summary_stats_binary_opIfEEE10hipError_tPvRmT1_T2_T3_mT4_P12ihipStream_tbEUlT_E0_NS1_11comp_targetILNS1_3genE4ELNS1_11target_archE910ELNS1_3gpuE8ELNS1_3repE0EEENS1_30default_config_static_selectorELNS0_4arch9wavefront6targetE0EEEvSR_.numbered_sgpr, 0
	.set _ZN7rocprim17ROCPRIM_400000_NS6detail17trampoline_kernelINS0_14default_configENS1_22reduce_config_selectorI18summary_stats_dataIfEEEZNS1_11reduce_implILb1ES3_N6thrust23THRUST_200600_302600_NS11hip_rocprim26transform_input_iterator_tIS6_NSA_6detail15normal_iteratorINSA_10device_ptrIfEEEE22summary_stats_unary_opIfEEEPS6_S6_23summary_stats_binary_opIfEEE10hipError_tPvRmT1_T2_T3_mT4_P12ihipStream_tbEUlT_E0_NS1_11comp_targetILNS1_3genE4ELNS1_11target_archE910ELNS1_3gpuE8ELNS1_3repE0EEENS1_30default_config_static_selectorELNS0_4arch9wavefront6targetE0EEEvSR_.num_named_barrier, 0
	.set _ZN7rocprim17ROCPRIM_400000_NS6detail17trampoline_kernelINS0_14default_configENS1_22reduce_config_selectorI18summary_stats_dataIfEEEZNS1_11reduce_implILb1ES3_N6thrust23THRUST_200600_302600_NS11hip_rocprim26transform_input_iterator_tIS6_NSA_6detail15normal_iteratorINSA_10device_ptrIfEEEE22summary_stats_unary_opIfEEEPS6_S6_23summary_stats_binary_opIfEEE10hipError_tPvRmT1_T2_T3_mT4_P12ihipStream_tbEUlT_E0_NS1_11comp_targetILNS1_3genE4ELNS1_11target_archE910ELNS1_3gpuE8ELNS1_3repE0EEENS1_30default_config_static_selectorELNS0_4arch9wavefront6targetE0EEEvSR_.private_seg_size, 0
	.set _ZN7rocprim17ROCPRIM_400000_NS6detail17trampoline_kernelINS0_14default_configENS1_22reduce_config_selectorI18summary_stats_dataIfEEEZNS1_11reduce_implILb1ES3_N6thrust23THRUST_200600_302600_NS11hip_rocprim26transform_input_iterator_tIS6_NSA_6detail15normal_iteratorINSA_10device_ptrIfEEEE22summary_stats_unary_opIfEEEPS6_S6_23summary_stats_binary_opIfEEE10hipError_tPvRmT1_T2_T3_mT4_P12ihipStream_tbEUlT_E0_NS1_11comp_targetILNS1_3genE4ELNS1_11target_archE910ELNS1_3gpuE8ELNS1_3repE0EEENS1_30default_config_static_selectorELNS0_4arch9wavefront6targetE0EEEvSR_.uses_vcc, 0
	.set _ZN7rocprim17ROCPRIM_400000_NS6detail17trampoline_kernelINS0_14default_configENS1_22reduce_config_selectorI18summary_stats_dataIfEEEZNS1_11reduce_implILb1ES3_N6thrust23THRUST_200600_302600_NS11hip_rocprim26transform_input_iterator_tIS6_NSA_6detail15normal_iteratorINSA_10device_ptrIfEEEE22summary_stats_unary_opIfEEEPS6_S6_23summary_stats_binary_opIfEEE10hipError_tPvRmT1_T2_T3_mT4_P12ihipStream_tbEUlT_E0_NS1_11comp_targetILNS1_3genE4ELNS1_11target_archE910ELNS1_3gpuE8ELNS1_3repE0EEENS1_30default_config_static_selectorELNS0_4arch9wavefront6targetE0EEEvSR_.uses_flat_scratch, 0
	.set _ZN7rocprim17ROCPRIM_400000_NS6detail17trampoline_kernelINS0_14default_configENS1_22reduce_config_selectorI18summary_stats_dataIfEEEZNS1_11reduce_implILb1ES3_N6thrust23THRUST_200600_302600_NS11hip_rocprim26transform_input_iterator_tIS6_NSA_6detail15normal_iteratorINSA_10device_ptrIfEEEE22summary_stats_unary_opIfEEEPS6_S6_23summary_stats_binary_opIfEEE10hipError_tPvRmT1_T2_T3_mT4_P12ihipStream_tbEUlT_E0_NS1_11comp_targetILNS1_3genE4ELNS1_11target_archE910ELNS1_3gpuE8ELNS1_3repE0EEENS1_30default_config_static_selectorELNS0_4arch9wavefront6targetE0EEEvSR_.has_dyn_sized_stack, 0
	.set _ZN7rocprim17ROCPRIM_400000_NS6detail17trampoline_kernelINS0_14default_configENS1_22reduce_config_selectorI18summary_stats_dataIfEEEZNS1_11reduce_implILb1ES3_N6thrust23THRUST_200600_302600_NS11hip_rocprim26transform_input_iterator_tIS6_NSA_6detail15normal_iteratorINSA_10device_ptrIfEEEE22summary_stats_unary_opIfEEEPS6_S6_23summary_stats_binary_opIfEEE10hipError_tPvRmT1_T2_T3_mT4_P12ihipStream_tbEUlT_E0_NS1_11comp_targetILNS1_3genE4ELNS1_11target_archE910ELNS1_3gpuE8ELNS1_3repE0EEENS1_30default_config_static_selectorELNS0_4arch9wavefront6targetE0EEEvSR_.has_recursion, 0
	.set _ZN7rocprim17ROCPRIM_400000_NS6detail17trampoline_kernelINS0_14default_configENS1_22reduce_config_selectorI18summary_stats_dataIfEEEZNS1_11reduce_implILb1ES3_N6thrust23THRUST_200600_302600_NS11hip_rocprim26transform_input_iterator_tIS6_NSA_6detail15normal_iteratorINSA_10device_ptrIfEEEE22summary_stats_unary_opIfEEEPS6_S6_23summary_stats_binary_opIfEEE10hipError_tPvRmT1_T2_T3_mT4_P12ihipStream_tbEUlT_E0_NS1_11comp_targetILNS1_3genE4ELNS1_11target_archE910ELNS1_3gpuE8ELNS1_3repE0EEENS1_30default_config_static_selectorELNS0_4arch9wavefront6targetE0EEEvSR_.has_indirect_call, 0
	.section	.AMDGPU.csdata,"",@progbits
; Kernel info:
; codeLenInByte = 0
; TotalNumSgprs: 0
; NumVgprs: 0
; ScratchSize: 0
; MemoryBound: 0
; FloatMode: 240
; IeeeMode: 1
; LDSByteSize: 0 bytes/workgroup (compile time only)
; SGPRBlocks: 0
; VGPRBlocks: 0
; NumSGPRsForWavesPerEU: 1
; NumVGPRsForWavesPerEU: 1
; Occupancy: 16
; WaveLimiterHint : 0
; COMPUTE_PGM_RSRC2:SCRATCH_EN: 0
; COMPUTE_PGM_RSRC2:USER_SGPR: 6
; COMPUTE_PGM_RSRC2:TRAP_HANDLER: 0
; COMPUTE_PGM_RSRC2:TGID_X_EN: 1
; COMPUTE_PGM_RSRC2:TGID_Y_EN: 0
; COMPUTE_PGM_RSRC2:TGID_Z_EN: 0
; COMPUTE_PGM_RSRC2:TIDIG_COMP_CNT: 0
	.section	.text._ZN7rocprim17ROCPRIM_400000_NS6detail17trampoline_kernelINS0_14default_configENS1_22reduce_config_selectorI18summary_stats_dataIfEEEZNS1_11reduce_implILb1ES3_N6thrust23THRUST_200600_302600_NS11hip_rocprim26transform_input_iterator_tIS6_NSA_6detail15normal_iteratorINSA_10device_ptrIfEEEE22summary_stats_unary_opIfEEEPS6_S6_23summary_stats_binary_opIfEEE10hipError_tPvRmT1_T2_T3_mT4_P12ihipStream_tbEUlT_E0_NS1_11comp_targetILNS1_3genE3ELNS1_11target_archE908ELNS1_3gpuE7ELNS1_3repE0EEENS1_30default_config_static_selectorELNS0_4arch9wavefront6targetE0EEEvSR_,"axG",@progbits,_ZN7rocprim17ROCPRIM_400000_NS6detail17trampoline_kernelINS0_14default_configENS1_22reduce_config_selectorI18summary_stats_dataIfEEEZNS1_11reduce_implILb1ES3_N6thrust23THRUST_200600_302600_NS11hip_rocprim26transform_input_iterator_tIS6_NSA_6detail15normal_iteratorINSA_10device_ptrIfEEEE22summary_stats_unary_opIfEEEPS6_S6_23summary_stats_binary_opIfEEE10hipError_tPvRmT1_T2_T3_mT4_P12ihipStream_tbEUlT_E0_NS1_11comp_targetILNS1_3genE3ELNS1_11target_archE908ELNS1_3gpuE7ELNS1_3repE0EEENS1_30default_config_static_selectorELNS0_4arch9wavefront6targetE0EEEvSR_,comdat
	.protected	_ZN7rocprim17ROCPRIM_400000_NS6detail17trampoline_kernelINS0_14default_configENS1_22reduce_config_selectorI18summary_stats_dataIfEEEZNS1_11reduce_implILb1ES3_N6thrust23THRUST_200600_302600_NS11hip_rocprim26transform_input_iterator_tIS6_NSA_6detail15normal_iteratorINSA_10device_ptrIfEEEE22summary_stats_unary_opIfEEEPS6_S6_23summary_stats_binary_opIfEEE10hipError_tPvRmT1_T2_T3_mT4_P12ihipStream_tbEUlT_E0_NS1_11comp_targetILNS1_3genE3ELNS1_11target_archE908ELNS1_3gpuE7ELNS1_3repE0EEENS1_30default_config_static_selectorELNS0_4arch9wavefront6targetE0EEEvSR_ ; -- Begin function _ZN7rocprim17ROCPRIM_400000_NS6detail17trampoline_kernelINS0_14default_configENS1_22reduce_config_selectorI18summary_stats_dataIfEEEZNS1_11reduce_implILb1ES3_N6thrust23THRUST_200600_302600_NS11hip_rocprim26transform_input_iterator_tIS6_NSA_6detail15normal_iteratorINSA_10device_ptrIfEEEE22summary_stats_unary_opIfEEEPS6_S6_23summary_stats_binary_opIfEEE10hipError_tPvRmT1_T2_T3_mT4_P12ihipStream_tbEUlT_E0_NS1_11comp_targetILNS1_3genE3ELNS1_11target_archE908ELNS1_3gpuE7ELNS1_3repE0EEENS1_30default_config_static_selectorELNS0_4arch9wavefront6targetE0EEEvSR_
	.globl	_ZN7rocprim17ROCPRIM_400000_NS6detail17trampoline_kernelINS0_14default_configENS1_22reduce_config_selectorI18summary_stats_dataIfEEEZNS1_11reduce_implILb1ES3_N6thrust23THRUST_200600_302600_NS11hip_rocprim26transform_input_iterator_tIS6_NSA_6detail15normal_iteratorINSA_10device_ptrIfEEEE22summary_stats_unary_opIfEEEPS6_S6_23summary_stats_binary_opIfEEE10hipError_tPvRmT1_T2_T3_mT4_P12ihipStream_tbEUlT_E0_NS1_11comp_targetILNS1_3genE3ELNS1_11target_archE908ELNS1_3gpuE7ELNS1_3repE0EEENS1_30default_config_static_selectorELNS0_4arch9wavefront6targetE0EEEvSR_
	.p2align	8
	.type	_ZN7rocprim17ROCPRIM_400000_NS6detail17trampoline_kernelINS0_14default_configENS1_22reduce_config_selectorI18summary_stats_dataIfEEEZNS1_11reduce_implILb1ES3_N6thrust23THRUST_200600_302600_NS11hip_rocprim26transform_input_iterator_tIS6_NSA_6detail15normal_iteratorINSA_10device_ptrIfEEEE22summary_stats_unary_opIfEEEPS6_S6_23summary_stats_binary_opIfEEE10hipError_tPvRmT1_T2_T3_mT4_P12ihipStream_tbEUlT_E0_NS1_11comp_targetILNS1_3genE3ELNS1_11target_archE908ELNS1_3gpuE7ELNS1_3repE0EEENS1_30default_config_static_selectorELNS0_4arch9wavefront6targetE0EEEvSR_,@function
_ZN7rocprim17ROCPRIM_400000_NS6detail17trampoline_kernelINS0_14default_configENS1_22reduce_config_selectorI18summary_stats_dataIfEEEZNS1_11reduce_implILb1ES3_N6thrust23THRUST_200600_302600_NS11hip_rocprim26transform_input_iterator_tIS6_NSA_6detail15normal_iteratorINSA_10device_ptrIfEEEE22summary_stats_unary_opIfEEEPS6_S6_23summary_stats_binary_opIfEEE10hipError_tPvRmT1_T2_T3_mT4_P12ihipStream_tbEUlT_E0_NS1_11comp_targetILNS1_3genE3ELNS1_11target_archE908ELNS1_3gpuE7ELNS1_3repE0EEENS1_30default_config_static_selectorELNS0_4arch9wavefront6targetE0EEEvSR_: ; @_ZN7rocprim17ROCPRIM_400000_NS6detail17trampoline_kernelINS0_14default_configENS1_22reduce_config_selectorI18summary_stats_dataIfEEEZNS1_11reduce_implILb1ES3_N6thrust23THRUST_200600_302600_NS11hip_rocprim26transform_input_iterator_tIS6_NSA_6detail15normal_iteratorINSA_10device_ptrIfEEEE22summary_stats_unary_opIfEEEPS6_S6_23summary_stats_binary_opIfEEE10hipError_tPvRmT1_T2_T3_mT4_P12ihipStream_tbEUlT_E0_NS1_11comp_targetILNS1_3genE3ELNS1_11target_archE908ELNS1_3gpuE7ELNS1_3repE0EEENS1_30default_config_static_selectorELNS0_4arch9wavefront6targetE0EEEvSR_
; %bb.0:
	.section	.rodata,"a",@progbits
	.p2align	6, 0x0
	.amdhsa_kernel _ZN7rocprim17ROCPRIM_400000_NS6detail17trampoline_kernelINS0_14default_configENS1_22reduce_config_selectorI18summary_stats_dataIfEEEZNS1_11reduce_implILb1ES3_N6thrust23THRUST_200600_302600_NS11hip_rocprim26transform_input_iterator_tIS6_NSA_6detail15normal_iteratorINSA_10device_ptrIfEEEE22summary_stats_unary_opIfEEEPS6_S6_23summary_stats_binary_opIfEEE10hipError_tPvRmT1_T2_T3_mT4_P12ihipStream_tbEUlT_E0_NS1_11comp_targetILNS1_3genE3ELNS1_11target_archE908ELNS1_3gpuE7ELNS1_3repE0EEENS1_30default_config_static_selectorELNS0_4arch9wavefront6targetE0EEEvSR_
		.amdhsa_group_segment_fixed_size 0
		.amdhsa_private_segment_fixed_size 0
		.amdhsa_kernarg_size 88
		.amdhsa_user_sgpr_count 6
		.amdhsa_user_sgpr_private_segment_buffer 1
		.amdhsa_user_sgpr_dispatch_ptr 0
		.amdhsa_user_sgpr_queue_ptr 0
		.amdhsa_user_sgpr_kernarg_segment_ptr 1
		.amdhsa_user_sgpr_dispatch_id 0
		.amdhsa_user_sgpr_flat_scratch_init 0
		.amdhsa_user_sgpr_private_segment_size 0
		.amdhsa_wavefront_size32 1
		.amdhsa_uses_dynamic_stack 0
		.amdhsa_system_sgpr_private_segment_wavefront_offset 0
		.amdhsa_system_sgpr_workgroup_id_x 1
		.amdhsa_system_sgpr_workgroup_id_y 0
		.amdhsa_system_sgpr_workgroup_id_z 0
		.amdhsa_system_sgpr_workgroup_info 0
		.amdhsa_system_vgpr_workitem_id 0
		.amdhsa_next_free_vgpr 1
		.amdhsa_next_free_sgpr 1
		.amdhsa_reserve_vcc 0
		.amdhsa_reserve_flat_scratch 0
		.amdhsa_float_round_mode_32 0
		.amdhsa_float_round_mode_16_64 0
		.amdhsa_float_denorm_mode_32 3
		.amdhsa_float_denorm_mode_16_64 3
		.amdhsa_dx10_clamp 1
		.amdhsa_ieee_mode 1
		.amdhsa_fp16_overflow 0
		.amdhsa_workgroup_processor_mode 1
		.amdhsa_memory_ordered 1
		.amdhsa_forward_progress 1
		.amdhsa_shared_vgpr_count 0
		.amdhsa_exception_fp_ieee_invalid_op 0
		.amdhsa_exception_fp_denorm_src 0
		.amdhsa_exception_fp_ieee_div_zero 0
		.amdhsa_exception_fp_ieee_overflow 0
		.amdhsa_exception_fp_ieee_underflow 0
		.amdhsa_exception_fp_ieee_inexact 0
		.amdhsa_exception_int_div_zero 0
	.end_amdhsa_kernel
	.section	.text._ZN7rocprim17ROCPRIM_400000_NS6detail17trampoline_kernelINS0_14default_configENS1_22reduce_config_selectorI18summary_stats_dataIfEEEZNS1_11reduce_implILb1ES3_N6thrust23THRUST_200600_302600_NS11hip_rocprim26transform_input_iterator_tIS6_NSA_6detail15normal_iteratorINSA_10device_ptrIfEEEE22summary_stats_unary_opIfEEEPS6_S6_23summary_stats_binary_opIfEEE10hipError_tPvRmT1_T2_T3_mT4_P12ihipStream_tbEUlT_E0_NS1_11comp_targetILNS1_3genE3ELNS1_11target_archE908ELNS1_3gpuE7ELNS1_3repE0EEENS1_30default_config_static_selectorELNS0_4arch9wavefront6targetE0EEEvSR_,"axG",@progbits,_ZN7rocprim17ROCPRIM_400000_NS6detail17trampoline_kernelINS0_14default_configENS1_22reduce_config_selectorI18summary_stats_dataIfEEEZNS1_11reduce_implILb1ES3_N6thrust23THRUST_200600_302600_NS11hip_rocprim26transform_input_iterator_tIS6_NSA_6detail15normal_iteratorINSA_10device_ptrIfEEEE22summary_stats_unary_opIfEEEPS6_S6_23summary_stats_binary_opIfEEE10hipError_tPvRmT1_T2_T3_mT4_P12ihipStream_tbEUlT_E0_NS1_11comp_targetILNS1_3genE3ELNS1_11target_archE908ELNS1_3gpuE7ELNS1_3repE0EEENS1_30default_config_static_selectorELNS0_4arch9wavefront6targetE0EEEvSR_,comdat
.Lfunc_end21:
	.size	_ZN7rocprim17ROCPRIM_400000_NS6detail17trampoline_kernelINS0_14default_configENS1_22reduce_config_selectorI18summary_stats_dataIfEEEZNS1_11reduce_implILb1ES3_N6thrust23THRUST_200600_302600_NS11hip_rocprim26transform_input_iterator_tIS6_NSA_6detail15normal_iteratorINSA_10device_ptrIfEEEE22summary_stats_unary_opIfEEEPS6_S6_23summary_stats_binary_opIfEEE10hipError_tPvRmT1_T2_T3_mT4_P12ihipStream_tbEUlT_E0_NS1_11comp_targetILNS1_3genE3ELNS1_11target_archE908ELNS1_3gpuE7ELNS1_3repE0EEENS1_30default_config_static_selectorELNS0_4arch9wavefront6targetE0EEEvSR_, .Lfunc_end21-_ZN7rocprim17ROCPRIM_400000_NS6detail17trampoline_kernelINS0_14default_configENS1_22reduce_config_selectorI18summary_stats_dataIfEEEZNS1_11reduce_implILb1ES3_N6thrust23THRUST_200600_302600_NS11hip_rocprim26transform_input_iterator_tIS6_NSA_6detail15normal_iteratorINSA_10device_ptrIfEEEE22summary_stats_unary_opIfEEEPS6_S6_23summary_stats_binary_opIfEEE10hipError_tPvRmT1_T2_T3_mT4_P12ihipStream_tbEUlT_E0_NS1_11comp_targetILNS1_3genE3ELNS1_11target_archE908ELNS1_3gpuE7ELNS1_3repE0EEENS1_30default_config_static_selectorELNS0_4arch9wavefront6targetE0EEEvSR_
                                        ; -- End function
	.set _ZN7rocprim17ROCPRIM_400000_NS6detail17trampoline_kernelINS0_14default_configENS1_22reduce_config_selectorI18summary_stats_dataIfEEEZNS1_11reduce_implILb1ES3_N6thrust23THRUST_200600_302600_NS11hip_rocprim26transform_input_iterator_tIS6_NSA_6detail15normal_iteratorINSA_10device_ptrIfEEEE22summary_stats_unary_opIfEEEPS6_S6_23summary_stats_binary_opIfEEE10hipError_tPvRmT1_T2_T3_mT4_P12ihipStream_tbEUlT_E0_NS1_11comp_targetILNS1_3genE3ELNS1_11target_archE908ELNS1_3gpuE7ELNS1_3repE0EEENS1_30default_config_static_selectorELNS0_4arch9wavefront6targetE0EEEvSR_.num_vgpr, 0
	.set _ZN7rocprim17ROCPRIM_400000_NS6detail17trampoline_kernelINS0_14default_configENS1_22reduce_config_selectorI18summary_stats_dataIfEEEZNS1_11reduce_implILb1ES3_N6thrust23THRUST_200600_302600_NS11hip_rocprim26transform_input_iterator_tIS6_NSA_6detail15normal_iteratorINSA_10device_ptrIfEEEE22summary_stats_unary_opIfEEEPS6_S6_23summary_stats_binary_opIfEEE10hipError_tPvRmT1_T2_T3_mT4_P12ihipStream_tbEUlT_E0_NS1_11comp_targetILNS1_3genE3ELNS1_11target_archE908ELNS1_3gpuE7ELNS1_3repE0EEENS1_30default_config_static_selectorELNS0_4arch9wavefront6targetE0EEEvSR_.num_agpr, 0
	.set _ZN7rocprim17ROCPRIM_400000_NS6detail17trampoline_kernelINS0_14default_configENS1_22reduce_config_selectorI18summary_stats_dataIfEEEZNS1_11reduce_implILb1ES3_N6thrust23THRUST_200600_302600_NS11hip_rocprim26transform_input_iterator_tIS6_NSA_6detail15normal_iteratorINSA_10device_ptrIfEEEE22summary_stats_unary_opIfEEEPS6_S6_23summary_stats_binary_opIfEEE10hipError_tPvRmT1_T2_T3_mT4_P12ihipStream_tbEUlT_E0_NS1_11comp_targetILNS1_3genE3ELNS1_11target_archE908ELNS1_3gpuE7ELNS1_3repE0EEENS1_30default_config_static_selectorELNS0_4arch9wavefront6targetE0EEEvSR_.numbered_sgpr, 0
	.set _ZN7rocprim17ROCPRIM_400000_NS6detail17trampoline_kernelINS0_14default_configENS1_22reduce_config_selectorI18summary_stats_dataIfEEEZNS1_11reduce_implILb1ES3_N6thrust23THRUST_200600_302600_NS11hip_rocprim26transform_input_iterator_tIS6_NSA_6detail15normal_iteratorINSA_10device_ptrIfEEEE22summary_stats_unary_opIfEEEPS6_S6_23summary_stats_binary_opIfEEE10hipError_tPvRmT1_T2_T3_mT4_P12ihipStream_tbEUlT_E0_NS1_11comp_targetILNS1_3genE3ELNS1_11target_archE908ELNS1_3gpuE7ELNS1_3repE0EEENS1_30default_config_static_selectorELNS0_4arch9wavefront6targetE0EEEvSR_.num_named_barrier, 0
	.set _ZN7rocprim17ROCPRIM_400000_NS6detail17trampoline_kernelINS0_14default_configENS1_22reduce_config_selectorI18summary_stats_dataIfEEEZNS1_11reduce_implILb1ES3_N6thrust23THRUST_200600_302600_NS11hip_rocprim26transform_input_iterator_tIS6_NSA_6detail15normal_iteratorINSA_10device_ptrIfEEEE22summary_stats_unary_opIfEEEPS6_S6_23summary_stats_binary_opIfEEE10hipError_tPvRmT1_T2_T3_mT4_P12ihipStream_tbEUlT_E0_NS1_11comp_targetILNS1_3genE3ELNS1_11target_archE908ELNS1_3gpuE7ELNS1_3repE0EEENS1_30default_config_static_selectorELNS0_4arch9wavefront6targetE0EEEvSR_.private_seg_size, 0
	.set _ZN7rocprim17ROCPRIM_400000_NS6detail17trampoline_kernelINS0_14default_configENS1_22reduce_config_selectorI18summary_stats_dataIfEEEZNS1_11reduce_implILb1ES3_N6thrust23THRUST_200600_302600_NS11hip_rocprim26transform_input_iterator_tIS6_NSA_6detail15normal_iteratorINSA_10device_ptrIfEEEE22summary_stats_unary_opIfEEEPS6_S6_23summary_stats_binary_opIfEEE10hipError_tPvRmT1_T2_T3_mT4_P12ihipStream_tbEUlT_E0_NS1_11comp_targetILNS1_3genE3ELNS1_11target_archE908ELNS1_3gpuE7ELNS1_3repE0EEENS1_30default_config_static_selectorELNS0_4arch9wavefront6targetE0EEEvSR_.uses_vcc, 0
	.set _ZN7rocprim17ROCPRIM_400000_NS6detail17trampoline_kernelINS0_14default_configENS1_22reduce_config_selectorI18summary_stats_dataIfEEEZNS1_11reduce_implILb1ES3_N6thrust23THRUST_200600_302600_NS11hip_rocprim26transform_input_iterator_tIS6_NSA_6detail15normal_iteratorINSA_10device_ptrIfEEEE22summary_stats_unary_opIfEEEPS6_S6_23summary_stats_binary_opIfEEE10hipError_tPvRmT1_T2_T3_mT4_P12ihipStream_tbEUlT_E0_NS1_11comp_targetILNS1_3genE3ELNS1_11target_archE908ELNS1_3gpuE7ELNS1_3repE0EEENS1_30default_config_static_selectorELNS0_4arch9wavefront6targetE0EEEvSR_.uses_flat_scratch, 0
	.set _ZN7rocprim17ROCPRIM_400000_NS6detail17trampoline_kernelINS0_14default_configENS1_22reduce_config_selectorI18summary_stats_dataIfEEEZNS1_11reduce_implILb1ES3_N6thrust23THRUST_200600_302600_NS11hip_rocprim26transform_input_iterator_tIS6_NSA_6detail15normal_iteratorINSA_10device_ptrIfEEEE22summary_stats_unary_opIfEEEPS6_S6_23summary_stats_binary_opIfEEE10hipError_tPvRmT1_T2_T3_mT4_P12ihipStream_tbEUlT_E0_NS1_11comp_targetILNS1_3genE3ELNS1_11target_archE908ELNS1_3gpuE7ELNS1_3repE0EEENS1_30default_config_static_selectorELNS0_4arch9wavefront6targetE0EEEvSR_.has_dyn_sized_stack, 0
	.set _ZN7rocprim17ROCPRIM_400000_NS6detail17trampoline_kernelINS0_14default_configENS1_22reduce_config_selectorI18summary_stats_dataIfEEEZNS1_11reduce_implILb1ES3_N6thrust23THRUST_200600_302600_NS11hip_rocprim26transform_input_iterator_tIS6_NSA_6detail15normal_iteratorINSA_10device_ptrIfEEEE22summary_stats_unary_opIfEEEPS6_S6_23summary_stats_binary_opIfEEE10hipError_tPvRmT1_T2_T3_mT4_P12ihipStream_tbEUlT_E0_NS1_11comp_targetILNS1_3genE3ELNS1_11target_archE908ELNS1_3gpuE7ELNS1_3repE0EEENS1_30default_config_static_selectorELNS0_4arch9wavefront6targetE0EEEvSR_.has_recursion, 0
	.set _ZN7rocprim17ROCPRIM_400000_NS6detail17trampoline_kernelINS0_14default_configENS1_22reduce_config_selectorI18summary_stats_dataIfEEEZNS1_11reduce_implILb1ES3_N6thrust23THRUST_200600_302600_NS11hip_rocprim26transform_input_iterator_tIS6_NSA_6detail15normal_iteratorINSA_10device_ptrIfEEEE22summary_stats_unary_opIfEEEPS6_S6_23summary_stats_binary_opIfEEE10hipError_tPvRmT1_T2_T3_mT4_P12ihipStream_tbEUlT_E0_NS1_11comp_targetILNS1_3genE3ELNS1_11target_archE908ELNS1_3gpuE7ELNS1_3repE0EEENS1_30default_config_static_selectorELNS0_4arch9wavefront6targetE0EEEvSR_.has_indirect_call, 0
	.section	.AMDGPU.csdata,"",@progbits
; Kernel info:
; codeLenInByte = 0
; TotalNumSgprs: 0
; NumVgprs: 0
; ScratchSize: 0
; MemoryBound: 0
; FloatMode: 240
; IeeeMode: 1
; LDSByteSize: 0 bytes/workgroup (compile time only)
; SGPRBlocks: 0
; VGPRBlocks: 0
; NumSGPRsForWavesPerEU: 1
; NumVGPRsForWavesPerEU: 1
; Occupancy: 16
; WaveLimiterHint : 0
; COMPUTE_PGM_RSRC2:SCRATCH_EN: 0
; COMPUTE_PGM_RSRC2:USER_SGPR: 6
; COMPUTE_PGM_RSRC2:TRAP_HANDLER: 0
; COMPUTE_PGM_RSRC2:TGID_X_EN: 1
; COMPUTE_PGM_RSRC2:TGID_Y_EN: 0
; COMPUTE_PGM_RSRC2:TGID_Z_EN: 0
; COMPUTE_PGM_RSRC2:TIDIG_COMP_CNT: 0
	.section	.text._ZN7rocprim17ROCPRIM_400000_NS6detail17trampoline_kernelINS0_14default_configENS1_22reduce_config_selectorI18summary_stats_dataIfEEEZNS1_11reduce_implILb1ES3_N6thrust23THRUST_200600_302600_NS11hip_rocprim26transform_input_iterator_tIS6_NSA_6detail15normal_iteratorINSA_10device_ptrIfEEEE22summary_stats_unary_opIfEEEPS6_S6_23summary_stats_binary_opIfEEE10hipError_tPvRmT1_T2_T3_mT4_P12ihipStream_tbEUlT_E0_NS1_11comp_targetILNS1_3genE2ELNS1_11target_archE906ELNS1_3gpuE6ELNS1_3repE0EEENS1_30default_config_static_selectorELNS0_4arch9wavefront6targetE0EEEvSR_,"axG",@progbits,_ZN7rocprim17ROCPRIM_400000_NS6detail17trampoline_kernelINS0_14default_configENS1_22reduce_config_selectorI18summary_stats_dataIfEEEZNS1_11reduce_implILb1ES3_N6thrust23THRUST_200600_302600_NS11hip_rocprim26transform_input_iterator_tIS6_NSA_6detail15normal_iteratorINSA_10device_ptrIfEEEE22summary_stats_unary_opIfEEEPS6_S6_23summary_stats_binary_opIfEEE10hipError_tPvRmT1_T2_T3_mT4_P12ihipStream_tbEUlT_E0_NS1_11comp_targetILNS1_3genE2ELNS1_11target_archE906ELNS1_3gpuE6ELNS1_3repE0EEENS1_30default_config_static_selectorELNS0_4arch9wavefront6targetE0EEEvSR_,comdat
	.protected	_ZN7rocprim17ROCPRIM_400000_NS6detail17trampoline_kernelINS0_14default_configENS1_22reduce_config_selectorI18summary_stats_dataIfEEEZNS1_11reduce_implILb1ES3_N6thrust23THRUST_200600_302600_NS11hip_rocprim26transform_input_iterator_tIS6_NSA_6detail15normal_iteratorINSA_10device_ptrIfEEEE22summary_stats_unary_opIfEEEPS6_S6_23summary_stats_binary_opIfEEE10hipError_tPvRmT1_T2_T3_mT4_P12ihipStream_tbEUlT_E0_NS1_11comp_targetILNS1_3genE2ELNS1_11target_archE906ELNS1_3gpuE6ELNS1_3repE0EEENS1_30default_config_static_selectorELNS0_4arch9wavefront6targetE0EEEvSR_ ; -- Begin function _ZN7rocprim17ROCPRIM_400000_NS6detail17trampoline_kernelINS0_14default_configENS1_22reduce_config_selectorI18summary_stats_dataIfEEEZNS1_11reduce_implILb1ES3_N6thrust23THRUST_200600_302600_NS11hip_rocprim26transform_input_iterator_tIS6_NSA_6detail15normal_iteratorINSA_10device_ptrIfEEEE22summary_stats_unary_opIfEEEPS6_S6_23summary_stats_binary_opIfEEE10hipError_tPvRmT1_T2_T3_mT4_P12ihipStream_tbEUlT_E0_NS1_11comp_targetILNS1_3genE2ELNS1_11target_archE906ELNS1_3gpuE6ELNS1_3repE0EEENS1_30default_config_static_selectorELNS0_4arch9wavefront6targetE0EEEvSR_
	.globl	_ZN7rocprim17ROCPRIM_400000_NS6detail17trampoline_kernelINS0_14default_configENS1_22reduce_config_selectorI18summary_stats_dataIfEEEZNS1_11reduce_implILb1ES3_N6thrust23THRUST_200600_302600_NS11hip_rocprim26transform_input_iterator_tIS6_NSA_6detail15normal_iteratorINSA_10device_ptrIfEEEE22summary_stats_unary_opIfEEEPS6_S6_23summary_stats_binary_opIfEEE10hipError_tPvRmT1_T2_T3_mT4_P12ihipStream_tbEUlT_E0_NS1_11comp_targetILNS1_3genE2ELNS1_11target_archE906ELNS1_3gpuE6ELNS1_3repE0EEENS1_30default_config_static_selectorELNS0_4arch9wavefront6targetE0EEEvSR_
	.p2align	8
	.type	_ZN7rocprim17ROCPRIM_400000_NS6detail17trampoline_kernelINS0_14default_configENS1_22reduce_config_selectorI18summary_stats_dataIfEEEZNS1_11reduce_implILb1ES3_N6thrust23THRUST_200600_302600_NS11hip_rocprim26transform_input_iterator_tIS6_NSA_6detail15normal_iteratorINSA_10device_ptrIfEEEE22summary_stats_unary_opIfEEEPS6_S6_23summary_stats_binary_opIfEEE10hipError_tPvRmT1_T2_T3_mT4_P12ihipStream_tbEUlT_E0_NS1_11comp_targetILNS1_3genE2ELNS1_11target_archE906ELNS1_3gpuE6ELNS1_3repE0EEENS1_30default_config_static_selectorELNS0_4arch9wavefront6targetE0EEEvSR_,@function
_ZN7rocprim17ROCPRIM_400000_NS6detail17trampoline_kernelINS0_14default_configENS1_22reduce_config_selectorI18summary_stats_dataIfEEEZNS1_11reduce_implILb1ES3_N6thrust23THRUST_200600_302600_NS11hip_rocprim26transform_input_iterator_tIS6_NSA_6detail15normal_iteratorINSA_10device_ptrIfEEEE22summary_stats_unary_opIfEEEPS6_S6_23summary_stats_binary_opIfEEE10hipError_tPvRmT1_T2_T3_mT4_P12ihipStream_tbEUlT_E0_NS1_11comp_targetILNS1_3genE2ELNS1_11target_archE906ELNS1_3gpuE6ELNS1_3repE0EEENS1_30default_config_static_selectorELNS0_4arch9wavefront6targetE0EEEvSR_: ; @_ZN7rocprim17ROCPRIM_400000_NS6detail17trampoline_kernelINS0_14default_configENS1_22reduce_config_selectorI18summary_stats_dataIfEEEZNS1_11reduce_implILb1ES3_N6thrust23THRUST_200600_302600_NS11hip_rocprim26transform_input_iterator_tIS6_NSA_6detail15normal_iteratorINSA_10device_ptrIfEEEE22summary_stats_unary_opIfEEEPS6_S6_23summary_stats_binary_opIfEEE10hipError_tPvRmT1_T2_T3_mT4_P12ihipStream_tbEUlT_E0_NS1_11comp_targetILNS1_3genE2ELNS1_11target_archE906ELNS1_3gpuE6ELNS1_3repE0EEENS1_30default_config_static_selectorELNS0_4arch9wavefront6targetE0EEEvSR_
; %bb.0:
	.section	.rodata,"a",@progbits
	.p2align	6, 0x0
	.amdhsa_kernel _ZN7rocprim17ROCPRIM_400000_NS6detail17trampoline_kernelINS0_14default_configENS1_22reduce_config_selectorI18summary_stats_dataIfEEEZNS1_11reduce_implILb1ES3_N6thrust23THRUST_200600_302600_NS11hip_rocprim26transform_input_iterator_tIS6_NSA_6detail15normal_iteratorINSA_10device_ptrIfEEEE22summary_stats_unary_opIfEEEPS6_S6_23summary_stats_binary_opIfEEE10hipError_tPvRmT1_T2_T3_mT4_P12ihipStream_tbEUlT_E0_NS1_11comp_targetILNS1_3genE2ELNS1_11target_archE906ELNS1_3gpuE6ELNS1_3repE0EEENS1_30default_config_static_selectorELNS0_4arch9wavefront6targetE0EEEvSR_
		.amdhsa_group_segment_fixed_size 0
		.amdhsa_private_segment_fixed_size 0
		.amdhsa_kernarg_size 88
		.amdhsa_user_sgpr_count 6
		.amdhsa_user_sgpr_private_segment_buffer 1
		.amdhsa_user_sgpr_dispatch_ptr 0
		.amdhsa_user_sgpr_queue_ptr 0
		.amdhsa_user_sgpr_kernarg_segment_ptr 1
		.amdhsa_user_sgpr_dispatch_id 0
		.amdhsa_user_sgpr_flat_scratch_init 0
		.amdhsa_user_sgpr_private_segment_size 0
		.amdhsa_wavefront_size32 1
		.amdhsa_uses_dynamic_stack 0
		.amdhsa_system_sgpr_private_segment_wavefront_offset 0
		.amdhsa_system_sgpr_workgroup_id_x 1
		.amdhsa_system_sgpr_workgroup_id_y 0
		.amdhsa_system_sgpr_workgroup_id_z 0
		.amdhsa_system_sgpr_workgroup_info 0
		.amdhsa_system_vgpr_workitem_id 0
		.amdhsa_next_free_vgpr 1
		.amdhsa_next_free_sgpr 1
		.amdhsa_reserve_vcc 0
		.amdhsa_reserve_flat_scratch 0
		.amdhsa_float_round_mode_32 0
		.amdhsa_float_round_mode_16_64 0
		.amdhsa_float_denorm_mode_32 3
		.amdhsa_float_denorm_mode_16_64 3
		.amdhsa_dx10_clamp 1
		.amdhsa_ieee_mode 1
		.amdhsa_fp16_overflow 0
		.amdhsa_workgroup_processor_mode 1
		.amdhsa_memory_ordered 1
		.amdhsa_forward_progress 1
		.amdhsa_shared_vgpr_count 0
		.amdhsa_exception_fp_ieee_invalid_op 0
		.amdhsa_exception_fp_denorm_src 0
		.amdhsa_exception_fp_ieee_div_zero 0
		.amdhsa_exception_fp_ieee_overflow 0
		.amdhsa_exception_fp_ieee_underflow 0
		.amdhsa_exception_fp_ieee_inexact 0
		.amdhsa_exception_int_div_zero 0
	.end_amdhsa_kernel
	.section	.text._ZN7rocprim17ROCPRIM_400000_NS6detail17trampoline_kernelINS0_14default_configENS1_22reduce_config_selectorI18summary_stats_dataIfEEEZNS1_11reduce_implILb1ES3_N6thrust23THRUST_200600_302600_NS11hip_rocprim26transform_input_iterator_tIS6_NSA_6detail15normal_iteratorINSA_10device_ptrIfEEEE22summary_stats_unary_opIfEEEPS6_S6_23summary_stats_binary_opIfEEE10hipError_tPvRmT1_T2_T3_mT4_P12ihipStream_tbEUlT_E0_NS1_11comp_targetILNS1_3genE2ELNS1_11target_archE906ELNS1_3gpuE6ELNS1_3repE0EEENS1_30default_config_static_selectorELNS0_4arch9wavefront6targetE0EEEvSR_,"axG",@progbits,_ZN7rocprim17ROCPRIM_400000_NS6detail17trampoline_kernelINS0_14default_configENS1_22reduce_config_selectorI18summary_stats_dataIfEEEZNS1_11reduce_implILb1ES3_N6thrust23THRUST_200600_302600_NS11hip_rocprim26transform_input_iterator_tIS6_NSA_6detail15normal_iteratorINSA_10device_ptrIfEEEE22summary_stats_unary_opIfEEEPS6_S6_23summary_stats_binary_opIfEEE10hipError_tPvRmT1_T2_T3_mT4_P12ihipStream_tbEUlT_E0_NS1_11comp_targetILNS1_3genE2ELNS1_11target_archE906ELNS1_3gpuE6ELNS1_3repE0EEENS1_30default_config_static_selectorELNS0_4arch9wavefront6targetE0EEEvSR_,comdat
.Lfunc_end22:
	.size	_ZN7rocprim17ROCPRIM_400000_NS6detail17trampoline_kernelINS0_14default_configENS1_22reduce_config_selectorI18summary_stats_dataIfEEEZNS1_11reduce_implILb1ES3_N6thrust23THRUST_200600_302600_NS11hip_rocprim26transform_input_iterator_tIS6_NSA_6detail15normal_iteratorINSA_10device_ptrIfEEEE22summary_stats_unary_opIfEEEPS6_S6_23summary_stats_binary_opIfEEE10hipError_tPvRmT1_T2_T3_mT4_P12ihipStream_tbEUlT_E0_NS1_11comp_targetILNS1_3genE2ELNS1_11target_archE906ELNS1_3gpuE6ELNS1_3repE0EEENS1_30default_config_static_selectorELNS0_4arch9wavefront6targetE0EEEvSR_, .Lfunc_end22-_ZN7rocprim17ROCPRIM_400000_NS6detail17trampoline_kernelINS0_14default_configENS1_22reduce_config_selectorI18summary_stats_dataIfEEEZNS1_11reduce_implILb1ES3_N6thrust23THRUST_200600_302600_NS11hip_rocprim26transform_input_iterator_tIS6_NSA_6detail15normal_iteratorINSA_10device_ptrIfEEEE22summary_stats_unary_opIfEEEPS6_S6_23summary_stats_binary_opIfEEE10hipError_tPvRmT1_T2_T3_mT4_P12ihipStream_tbEUlT_E0_NS1_11comp_targetILNS1_3genE2ELNS1_11target_archE906ELNS1_3gpuE6ELNS1_3repE0EEENS1_30default_config_static_selectorELNS0_4arch9wavefront6targetE0EEEvSR_
                                        ; -- End function
	.set _ZN7rocprim17ROCPRIM_400000_NS6detail17trampoline_kernelINS0_14default_configENS1_22reduce_config_selectorI18summary_stats_dataIfEEEZNS1_11reduce_implILb1ES3_N6thrust23THRUST_200600_302600_NS11hip_rocprim26transform_input_iterator_tIS6_NSA_6detail15normal_iteratorINSA_10device_ptrIfEEEE22summary_stats_unary_opIfEEEPS6_S6_23summary_stats_binary_opIfEEE10hipError_tPvRmT1_T2_T3_mT4_P12ihipStream_tbEUlT_E0_NS1_11comp_targetILNS1_3genE2ELNS1_11target_archE906ELNS1_3gpuE6ELNS1_3repE0EEENS1_30default_config_static_selectorELNS0_4arch9wavefront6targetE0EEEvSR_.num_vgpr, 0
	.set _ZN7rocprim17ROCPRIM_400000_NS6detail17trampoline_kernelINS0_14default_configENS1_22reduce_config_selectorI18summary_stats_dataIfEEEZNS1_11reduce_implILb1ES3_N6thrust23THRUST_200600_302600_NS11hip_rocprim26transform_input_iterator_tIS6_NSA_6detail15normal_iteratorINSA_10device_ptrIfEEEE22summary_stats_unary_opIfEEEPS6_S6_23summary_stats_binary_opIfEEE10hipError_tPvRmT1_T2_T3_mT4_P12ihipStream_tbEUlT_E0_NS1_11comp_targetILNS1_3genE2ELNS1_11target_archE906ELNS1_3gpuE6ELNS1_3repE0EEENS1_30default_config_static_selectorELNS0_4arch9wavefront6targetE0EEEvSR_.num_agpr, 0
	.set _ZN7rocprim17ROCPRIM_400000_NS6detail17trampoline_kernelINS0_14default_configENS1_22reduce_config_selectorI18summary_stats_dataIfEEEZNS1_11reduce_implILb1ES3_N6thrust23THRUST_200600_302600_NS11hip_rocprim26transform_input_iterator_tIS6_NSA_6detail15normal_iteratorINSA_10device_ptrIfEEEE22summary_stats_unary_opIfEEEPS6_S6_23summary_stats_binary_opIfEEE10hipError_tPvRmT1_T2_T3_mT4_P12ihipStream_tbEUlT_E0_NS1_11comp_targetILNS1_3genE2ELNS1_11target_archE906ELNS1_3gpuE6ELNS1_3repE0EEENS1_30default_config_static_selectorELNS0_4arch9wavefront6targetE0EEEvSR_.numbered_sgpr, 0
	.set _ZN7rocprim17ROCPRIM_400000_NS6detail17trampoline_kernelINS0_14default_configENS1_22reduce_config_selectorI18summary_stats_dataIfEEEZNS1_11reduce_implILb1ES3_N6thrust23THRUST_200600_302600_NS11hip_rocprim26transform_input_iterator_tIS6_NSA_6detail15normal_iteratorINSA_10device_ptrIfEEEE22summary_stats_unary_opIfEEEPS6_S6_23summary_stats_binary_opIfEEE10hipError_tPvRmT1_T2_T3_mT4_P12ihipStream_tbEUlT_E0_NS1_11comp_targetILNS1_3genE2ELNS1_11target_archE906ELNS1_3gpuE6ELNS1_3repE0EEENS1_30default_config_static_selectorELNS0_4arch9wavefront6targetE0EEEvSR_.num_named_barrier, 0
	.set _ZN7rocprim17ROCPRIM_400000_NS6detail17trampoline_kernelINS0_14default_configENS1_22reduce_config_selectorI18summary_stats_dataIfEEEZNS1_11reduce_implILb1ES3_N6thrust23THRUST_200600_302600_NS11hip_rocprim26transform_input_iterator_tIS6_NSA_6detail15normal_iteratorINSA_10device_ptrIfEEEE22summary_stats_unary_opIfEEEPS6_S6_23summary_stats_binary_opIfEEE10hipError_tPvRmT1_T2_T3_mT4_P12ihipStream_tbEUlT_E0_NS1_11comp_targetILNS1_3genE2ELNS1_11target_archE906ELNS1_3gpuE6ELNS1_3repE0EEENS1_30default_config_static_selectorELNS0_4arch9wavefront6targetE0EEEvSR_.private_seg_size, 0
	.set _ZN7rocprim17ROCPRIM_400000_NS6detail17trampoline_kernelINS0_14default_configENS1_22reduce_config_selectorI18summary_stats_dataIfEEEZNS1_11reduce_implILb1ES3_N6thrust23THRUST_200600_302600_NS11hip_rocprim26transform_input_iterator_tIS6_NSA_6detail15normal_iteratorINSA_10device_ptrIfEEEE22summary_stats_unary_opIfEEEPS6_S6_23summary_stats_binary_opIfEEE10hipError_tPvRmT1_T2_T3_mT4_P12ihipStream_tbEUlT_E0_NS1_11comp_targetILNS1_3genE2ELNS1_11target_archE906ELNS1_3gpuE6ELNS1_3repE0EEENS1_30default_config_static_selectorELNS0_4arch9wavefront6targetE0EEEvSR_.uses_vcc, 0
	.set _ZN7rocprim17ROCPRIM_400000_NS6detail17trampoline_kernelINS0_14default_configENS1_22reduce_config_selectorI18summary_stats_dataIfEEEZNS1_11reduce_implILb1ES3_N6thrust23THRUST_200600_302600_NS11hip_rocprim26transform_input_iterator_tIS6_NSA_6detail15normal_iteratorINSA_10device_ptrIfEEEE22summary_stats_unary_opIfEEEPS6_S6_23summary_stats_binary_opIfEEE10hipError_tPvRmT1_T2_T3_mT4_P12ihipStream_tbEUlT_E0_NS1_11comp_targetILNS1_3genE2ELNS1_11target_archE906ELNS1_3gpuE6ELNS1_3repE0EEENS1_30default_config_static_selectorELNS0_4arch9wavefront6targetE0EEEvSR_.uses_flat_scratch, 0
	.set _ZN7rocprim17ROCPRIM_400000_NS6detail17trampoline_kernelINS0_14default_configENS1_22reduce_config_selectorI18summary_stats_dataIfEEEZNS1_11reduce_implILb1ES3_N6thrust23THRUST_200600_302600_NS11hip_rocprim26transform_input_iterator_tIS6_NSA_6detail15normal_iteratorINSA_10device_ptrIfEEEE22summary_stats_unary_opIfEEEPS6_S6_23summary_stats_binary_opIfEEE10hipError_tPvRmT1_T2_T3_mT4_P12ihipStream_tbEUlT_E0_NS1_11comp_targetILNS1_3genE2ELNS1_11target_archE906ELNS1_3gpuE6ELNS1_3repE0EEENS1_30default_config_static_selectorELNS0_4arch9wavefront6targetE0EEEvSR_.has_dyn_sized_stack, 0
	.set _ZN7rocprim17ROCPRIM_400000_NS6detail17trampoline_kernelINS0_14default_configENS1_22reduce_config_selectorI18summary_stats_dataIfEEEZNS1_11reduce_implILb1ES3_N6thrust23THRUST_200600_302600_NS11hip_rocprim26transform_input_iterator_tIS6_NSA_6detail15normal_iteratorINSA_10device_ptrIfEEEE22summary_stats_unary_opIfEEEPS6_S6_23summary_stats_binary_opIfEEE10hipError_tPvRmT1_T2_T3_mT4_P12ihipStream_tbEUlT_E0_NS1_11comp_targetILNS1_3genE2ELNS1_11target_archE906ELNS1_3gpuE6ELNS1_3repE0EEENS1_30default_config_static_selectorELNS0_4arch9wavefront6targetE0EEEvSR_.has_recursion, 0
	.set _ZN7rocprim17ROCPRIM_400000_NS6detail17trampoline_kernelINS0_14default_configENS1_22reduce_config_selectorI18summary_stats_dataIfEEEZNS1_11reduce_implILb1ES3_N6thrust23THRUST_200600_302600_NS11hip_rocprim26transform_input_iterator_tIS6_NSA_6detail15normal_iteratorINSA_10device_ptrIfEEEE22summary_stats_unary_opIfEEEPS6_S6_23summary_stats_binary_opIfEEE10hipError_tPvRmT1_T2_T3_mT4_P12ihipStream_tbEUlT_E0_NS1_11comp_targetILNS1_3genE2ELNS1_11target_archE906ELNS1_3gpuE6ELNS1_3repE0EEENS1_30default_config_static_selectorELNS0_4arch9wavefront6targetE0EEEvSR_.has_indirect_call, 0
	.section	.AMDGPU.csdata,"",@progbits
; Kernel info:
; codeLenInByte = 0
; TotalNumSgprs: 0
; NumVgprs: 0
; ScratchSize: 0
; MemoryBound: 0
; FloatMode: 240
; IeeeMode: 1
; LDSByteSize: 0 bytes/workgroup (compile time only)
; SGPRBlocks: 0
; VGPRBlocks: 0
; NumSGPRsForWavesPerEU: 1
; NumVGPRsForWavesPerEU: 1
; Occupancy: 16
; WaveLimiterHint : 0
; COMPUTE_PGM_RSRC2:SCRATCH_EN: 0
; COMPUTE_PGM_RSRC2:USER_SGPR: 6
; COMPUTE_PGM_RSRC2:TRAP_HANDLER: 0
; COMPUTE_PGM_RSRC2:TGID_X_EN: 1
; COMPUTE_PGM_RSRC2:TGID_Y_EN: 0
; COMPUTE_PGM_RSRC2:TGID_Z_EN: 0
; COMPUTE_PGM_RSRC2:TIDIG_COMP_CNT: 0
	.section	.text._ZN7rocprim17ROCPRIM_400000_NS6detail17trampoline_kernelINS0_14default_configENS1_22reduce_config_selectorI18summary_stats_dataIfEEEZNS1_11reduce_implILb1ES3_N6thrust23THRUST_200600_302600_NS11hip_rocprim26transform_input_iterator_tIS6_NSA_6detail15normal_iteratorINSA_10device_ptrIfEEEE22summary_stats_unary_opIfEEEPS6_S6_23summary_stats_binary_opIfEEE10hipError_tPvRmT1_T2_T3_mT4_P12ihipStream_tbEUlT_E0_NS1_11comp_targetILNS1_3genE10ELNS1_11target_archE1201ELNS1_3gpuE5ELNS1_3repE0EEENS1_30default_config_static_selectorELNS0_4arch9wavefront6targetE0EEEvSR_,"axG",@progbits,_ZN7rocprim17ROCPRIM_400000_NS6detail17trampoline_kernelINS0_14default_configENS1_22reduce_config_selectorI18summary_stats_dataIfEEEZNS1_11reduce_implILb1ES3_N6thrust23THRUST_200600_302600_NS11hip_rocprim26transform_input_iterator_tIS6_NSA_6detail15normal_iteratorINSA_10device_ptrIfEEEE22summary_stats_unary_opIfEEEPS6_S6_23summary_stats_binary_opIfEEE10hipError_tPvRmT1_T2_T3_mT4_P12ihipStream_tbEUlT_E0_NS1_11comp_targetILNS1_3genE10ELNS1_11target_archE1201ELNS1_3gpuE5ELNS1_3repE0EEENS1_30default_config_static_selectorELNS0_4arch9wavefront6targetE0EEEvSR_,comdat
	.protected	_ZN7rocprim17ROCPRIM_400000_NS6detail17trampoline_kernelINS0_14default_configENS1_22reduce_config_selectorI18summary_stats_dataIfEEEZNS1_11reduce_implILb1ES3_N6thrust23THRUST_200600_302600_NS11hip_rocprim26transform_input_iterator_tIS6_NSA_6detail15normal_iteratorINSA_10device_ptrIfEEEE22summary_stats_unary_opIfEEEPS6_S6_23summary_stats_binary_opIfEEE10hipError_tPvRmT1_T2_T3_mT4_P12ihipStream_tbEUlT_E0_NS1_11comp_targetILNS1_3genE10ELNS1_11target_archE1201ELNS1_3gpuE5ELNS1_3repE0EEENS1_30default_config_static_selectorELNS0_4arch9wavefront6targetE0EEEvSR_ ; -- Begin function _ZN7rocprim17ROCPRIM_400000_NS6detail17trampoline_kernelINS0_14default_configENS1_22reduce_config_selectorI18summary_stats_dataIfEEEZNS1_11reduce_implILb1ES3_N6thrust23THRUST_200600_302600_NS11hip_rocprim26transform_input_iterator_tIS6_NSA_6detail15normal_iteratorINSA_10device_ptrIfEEEE22summary_stats_unary_opIfEEEPS6_S6_23summary_stats_binary_opIfEEE10hipError_tPvRmT1_T2_T3_mT4_P12ihipStream_tbEUlT_E0_NS1_11comp_targetILNS1_3genE10ELNS1_11target_archE1201ELNS1_3gpuE5ELNS1_3repE0EEENS1_30default_config_static_selectorELNS0_4arch9wavefront6targetE0EEEvSR_
	.globl	_ZN7rocprim17ROCPRIM_400000_NS6detail17trampoline_kernelINS0_14default_configENS1_22reduce_config_selectorI18summary_stats_dataIfEEEZNS1_11reduce_implILb1ES3_N6thrust23THRUST_200600_302600_NS11hip_rocprim26transform_input_iterator_tIS6_NSA_6detail15normal_iteratorINSA_10device_ptrIfEEEE22summary_stats_unary_opIfEEEPS6_S6_23summary_stats_binary_opIfEEE10hipError_tPvRmT1_T2_T3_mT4_P12ihipStream_tbEUlT_E0_NS1_11comp_targetILNS1_3genE10ELNS1_11target_archE1201ELNS1_3gpuE5ELNS1_3repE0EEENS1_30default_config_static_selectorELNS0_4arch9wavefront6targetE0EEEvSR_
	.p2align	8
	.type	_ZN7rocprim17ROCPRIM_400000_NS6detail17trampoline_kernelINS0_14default_configENS1_22reduce_config_selectorI18summary_stats_dataIfEEEZNS1_11reduce_implILb1ES3_N6thrust23THRUST_200600_302600_NS11hip_rocprim26transform_input_iterator_tIS6_NSA_6detail15normal_iteratorINSA_10device_ptrIfEEEE22summary_stats_unary_opIfEEEPS6_S6_23summary_stats_binary_opIfEEE10hipError_tPvRmT1_T2_T3_mT4_P12ihipStream_tbEUlT_E0_NS1_11comp_targetILNS1_3genE10ELNS1_11target_archE1201ELNS1_3gpuE5ELNS1_3repE0EEENS1_30default_config_static_selectorELNS0_4arch9wavefront6targetE0EEEvSR_,@function
_ZN7rocprim17ROCPRIM_400000_NS6detail17trampoline_kernelINS0_14default_configENS1_22reduce_config_selectorI18summary_stats_dataIfEEEZNS1_11reduce_implILb1ES3_N6thrust23THRUST_200600_302600_NS11hip_rocprim26transform_input_iterator_tIS6_NSA_6detail15normal_iteratorINSA_10device_ptrIfEEEE22summary_stats_unary_opIfEEEPS6_S6_23summary_stats_binary_opIfEEE10hipError_tPvRmT1_T2_T3_mT4_P12ihipStream_tbEUlT_E0_NS1_11comp_targetILNS1_3genE10ELNS1_11target_archE1201ELNS1_3gpuE5ELNS1_3repE0EEENS1_30default_config_static_selectorELNS0_4arch9wavefront6targetE0EEEvSR_: ; @_ZN7rocprim17ROCPRIM_400000_NS6detail17trampoline_kernelINS0_14default_configENS1_22reduce_config_selectorI18summary_stats_dataIfEEEZNS1_11reduce_implILb1ES3_N6thrust23THRUST_200600_302600_NS11hip_rocprim26transform_input_iterator_tIS6_NSA_6detail15normal_iteratorINSA_10device_ptrIfEEEE22summary_stats_unary_opIfEEEPS6_S6_23summary_stats_binary_opIfEEE10hipError_tPvRmT1_T2_T3_mT4_P12ihipStream_tbEUlT_E0_NS1_11comp_targetILNS1_3genE10ELNS1_11target_archE1201ELNS1_3gpuE5ELNS1_3repE0EEENS1_30default_config_static_selectorELNS0_4arch9wavefront6targetE0EEEvSR_
; %bb.0:
	.section	.rodata,"a",@progbits
	.p2align	6, 0x0
	.amdhsa_kernel _ZN7rocprim17ROCPRIM_400000_NS6detail17trampoline_kernelINS0_14default_configENS1_22reduce_config_selectorI18summary_stats_dataIfEEEZNS1_11reduce_implILb1ES3_N6thrust23THRUST_200600_302600_NS11hip_rocprim26transform_input_iterator_tIS6_NSA_6detail15normal_iteratorINSA_10device_ptrIfEEEE22summary_stats_unary_opIfEEEPS6_S6_23summary_stats_binary_opIfEEE10hipError_tPvRmT1_T2_T3_mT4_P12ihipStream_tbEUlT_E0_NS1_11comp_targetILNS1_3genE10ELNS1_11target_archE1201ELNS1_3gpuE5ELNS1_3repE0EEENS1_30default_config_static_selectorELNS0_4arch9wavefront6targetE0EEEvSR_
		.amdhsa_group_segment_fixed_size 0
		.amdhsa_private_segment_fixed_size 0
		.amdhsa_kernarg_size 88
		.amdhsa_user_sgpr_count 6
		.amdhsa_user_sgpr_private_segment_buffer 1
		.amdhsa_user_sgpr_dispatch_ptr 0
		.amdhsa_user_sgpr_queue_ptr 0
		.amdhsa_user_sgpr_kernarg_segment_ptr 1
		.amdhsa_user_sgpr_dispatch_id 0
		.amdhsa_user_sgpr_flat_scratch_init 0
		.amdhsa_user_sgpr_private_segment_size 0
		.amdhsa_wavefront_size32 1
		.amdhsa_uses_dynamic_stack 0
		.amdhsa_system_sgpr_private_segment_wavefront_offset 0
		.amdhsa_system_sgpr_workgroup_id_x 1
		.amdhsa_system_sgpr_workgroup_id_y 0
		.amdhsa_system_sgpr_workgroup_id_z 0
		.amdhsa_system_sgpr_workgroup_info 0
		.amdhsa_system_vgpr_workitem_id 0
		.amdhsa_next_free_vgpr 1
		.amdhsa_next_free_sgpr 1
		.amdhsa_reserve_vcc 0
		.amdhsa_reserve_flat_scratch 0
		.amdhsa_float_round_mode_32 0
		.amdhsa_float_round_mode_16_64 0
		.amdhsa_float_denorm_mode_32 3
		.amdhsa_float_denorm_mode_16_64 3
		.amdhsa_dx10_clamp 1
		.amdhsa_ieee_mode 1
		.amdhsa_fp16_overflow 0
		.amdhsa_workgroup_processor_mode 1
		.amdhsa_memory_ordered 1
		.amdhsa_forward_progress 1
		.amdhsa_shared_vgpr_count 0
		.amdhsa_exception_fp_ieee_invalid_op 0
		.amdhsa_exception_fp_denorm_src 0
		.amdhsa_exception_fp_ieee_div_zero 0
		.amdhsa_exception_fp_ieee_overflow 0
		.amdhsa_exception_fp_ieee_underflow 0
		.amdhsa_exception_fp_ieee_inexact 0
		.amdhsa_exception_int_div_zero 0
	.end_amdhsa_kernel
	.section	.text._ZN7rocprim17ROCPRIM_400000_NS6detail17trampoline_kernelINS0_14default_configENS1_22reduce_config_selectorI18summary_stats_dataIfEEEZNS1_11reduce_implILb1ES3_N6thrust23THRUST_200600_302600_NS11hip_rocprim26transform_input_iterator_tIS6_NSA_6detail15normal_iteratorINSA_10device_ptrIfEEEE22summary_stats_unary_opIfEEEPS6_S6_23summary_stats_binary_opIfEEE10hipError_tPvRmT1_T2_T3_mT4_P12ihipStream_tbEUlT_E0_NS1_11comp_targetILNS1_3genE10ELNS1_11target_archE1201ELNS1_3gpuE5ELNS1_3repE0EEENS1_30default_config_static_selectorELNS0_4arch9wavefront6targetE0EEEvSR_,"axG",@progbits,_ZN7rocprim17ROCPRIM_400000_NS6detail17trampoline_kernelINS0_14default_configENS1_22reduce_config_selectorI18summary_stats_dataIfEEEZNS1_11reduce_implILb1ES3_N6thrust23THRUST_200600_302600_NS11hip_rocprim26transform_input_iterator_tIS6_NSA_6detail15normal_iteratorINSA_10device_ptrIfEEEE22summary_stats_unary_opIfEEEPS6_S6_23summary_stats_binary_opIfEEE10hipError_tPvRmT1_T2_T3_mT4_P12ihipStream_tbEUlT_E0_NS1_11comp_targetILNS1_3genE10ELNS1_11target_archE1201ELNS1_3gpuE5ELNS1_3repE0EEENS1_30default_config_static_selectorELNS0_4arch9wavefront6targetE0EEEvSR_,comdat
.Lfunc_end23:
	.size	_ZN7rocprim17ROCPRIM_400000_NS6detail17trampoline_kernelINS0_14default_configENS1_22reduce_config_selectorI18summary_stats_dataIfEEEZNS1_11reduce_implILb1ES3_N6thrust23THRUST_200600_302600_NS11hip_rocprim26transform_input_iterator_tIS6_NSA_6detail15normal_iteratorINSA_10device_ptrIfEEEE22summary_stats_unary_opIfEEEPS6_S6_23summary_stats_binary_opIfEEE10hipError_tPvRmT1_T2_T3_mT4_P12ihipStream_tbEUlT_E0_NS1_11comp_targetILNS1_3genE10ELNS1_11target_archE1201ELNS1_3gpuE5ELNS1_3repE0EEENS1_30default_config_static_selectorELNS0_4arch9wavefront6targetE0EEEvSR_, .Lfunc_end23-_ZN7rocprim17ROCPRIM_400000_NS6detail17trampoline_kernelINS0_14default_configENS1_22reduce_config_selectorI18summary_stats_dataIfEEEZNS1_11reduce_implILb1ES3_N6thrust23THRUST_200600_302600_NS11hip_rocprim26transform_input_iterator_tIS6_NSA_6detail15normal_iteratorINSA_10device_ptrIfEEEE22summary_stats_unary_opIfEEEPS6_S6_23summary_stats_binary_opIfEEE10hipError_tPvRmT1_T2_T3_mT4_P12ihipStream_tbEUlT_E0_NS1_11comp_targetILNS1_3genE10ELNS1_11target_archE1201ELNS1_3gpuE5ELNS1_3repE0EEENS1_30default_config_static_selectorELNS0_4arch9wavefront6targetE0EEEvSR_
                                        ; -- End function
	.set _ZN7rocprim17ROCPRIM_400000_NS6detail17trampoline_kernelINS0_14default_configENS1_22reduce_config_selectorI18summary_stats_dataIfEEEZNS1_11reduce_implILb1ES3_N6thrust23THRUST_200600_302600_NS11hip_rocprim26transform_input_iterator_tIS6_NSA_6detail15normal_iteratorINSA_10device_ptrIfEEEE22summary_stats_unary_opIfEEEPS6_S6_23summary_stats_binary_opIfEEE10hipError_tPvRmT1_T2_T3_mT4_P12ihipStream_tbEUlT_E0_NS1_11comp_targetILNS1_3genE10ELNS1_11target_archE1201ELNS1_3gpuE5ELNS1_3repE0EEENS1_30default_config_static_selectorELNS0_4arch9wavefront6targetE0EEEvSR_.num_vgpr, 0
	.set _ZN7rocprim17ROCPRIM_400000_NS6detail17trampoline_kernelINS0_14default_configENS1_22reduce_config_selectorI18summary_stats_dataIfEEEZNS1_11reduce_implILb1ES3_N6thrust23THRUST_200600_302600_NS11hip_rocprim26transform_input_iterator_tIS6_NSA_6detail15normal_iteratorINSA_10device_ptrIfEEEE22summary_stats_unary_opIfEEEPS6_S6_23summary_stats_binary_opIfEEE10hipError_tPvRmT1_T2_T3_mT4_P12ihipStream_tbEUlT_E0_NS1_11comp_targetILNS1_3genE10ELNS1_11target_archE1201ELNS1_3gpuE5ELNS1_3repE0EEENS1_30default_config_static_selectorELNS0_4arch9wavefront6targetE0EEEvSR_.num_agpr, 0
	.set _ZN7rocprim17ROCPRIM_400000_NS6detail17trampoline_kernelINS0_14default_configENS1_22reduce_config_selectorI18summary_stats_dataIfEEEZNS1_11reduce_implILb1ES3_N6thrust23THRUST_200600_302600_NS11hip_rocprim26transform_input_iterator_tIS6_NSA_6detail15normal_iteratorINSA_10device_ptrIfEEEE22summary_stats_unary_opIfEEEPS6_S6_23summary_stats_binary_opIfEEE10hipError_tPvRmT1_T2_T3_mT4_P12ihipStream_tbEUlT_E0_NS1_11comp_targetILNS1_3genE10ELNS1_11target_archE1201ELNS1_3gpuE5ELNS1_3repE0EEENS1_30default_config_static_selectorELNS0_4arch9wavefront6targetE0EEEvSR_.numbered_sgpr, 0
	.set _ZN7rocprim17ROCPRIM_400000_NS6detail17trampoline_kernelINS0_14default_configENS1_22reduce_config_selectorI18summary_stats_dataIfEEEZNS1_11reduce_implILb1ES3_N6thrust23THRUST_200600_302600_NS11hip_rocprim26transform_input_iterator_tIS6_NSA_6detail15normal_iteratorINSA_10device_ptrIfEEEE22summary_stats_unary_opIfEEEPS6_S6_23summary_stats_binary_opIfEEE10hipError_tPvRmT1_T2_T3_mT4_P12ihipStream_tbEUlT_E0_NS1_11comp_targetILNS1_3genE10ELNS1_11target_archE1201ELNS1_3gpuE5ELNS1_3repE0EEENS1_30default_config_static_selectorELNS0_4arch9wavefront6targetE0EEEvSR_.num_named_barrier, 0
	.set _ZN7rocprim17ROCPRIM_400000_NS6detail17trampoline_kernelINS0_14default_configENS1_22reduce_config_selectorI18summary_stats_dataIfEEEZNS1_11reduce_implILb1ES3_N6thrust23THRUST_200600_302600_NS11hip_rocprim26transform_input_iterator_tIS6_NSA_6detail15normal_iteratorINSA_10device_ptrIfEEEE22summary_stats_unary_opIfEEEPS6_S6_23summary_stats_binary_opIfEEE10hipError_tPvRmT1_T2_T3_mT4_P12ihipStream_tbEUlT_E0_NS1_11comp_targetILNS1_3genE10ELNS1_11target_archE1201ELNS1_3gpuE5ELNS1_3repE0EEENS1_30default_config_static_selectorELNS0_4arch9wavefront6targetE0EEEvSR_.private_seg_size, 0
	.set _ZN7rocprim17ROCPRIM_400000_NS6detail17trampoline_kernelINS0_14default_configENS1_22reduce_config_selectorI18summary_stats_dataIfEEEZNS1_11reduce_implILb1ES3_N6thrust23THRUST_200600_302600_NS11hip_rocprim26transform_input_iterator_tIS6_NSA_6detail15normal_iteratorINSA_10device_ptrIfEEEE22summary_stats_unary_opIfEEEPS6_S6_23summary_stats_binary_opIfEEE10hipError_tPvRmT1_T2_T3_mT4_P12ihipStream_tbEUlT_E0_NS1_11comp_targetILNS1_3genE10ELNS1_11target_archE1201ELNS1_3gpuE5ELNS1_3repE0EEENS1_30default_config_static_selectorELNS0_4arch9wavefront6targetE0EEEvSR_.uses_vcc, 0
	.set _ZN7rocprim17ROCPRIM_400000_NS6detail17trampoline_kernelINS0_14default_configENS1_22reduce_config_selectorI18summary_stats_dataIfEEEZNS1_11reduce_implILb1ES3_N6thrust23THRUST_200600_302600_NS11hip_rocprim26transform_input_iterator_tIS6_NSA_6detail15normal_iteratorINSA_10device_ptrIfEEEE22summary_stats_unary_opIfEEEPS6_S6_23summary_stats_binary_opIfEEE10hipError_tPvRmT1_T2_T3_mT4_P12ihipStream_tbEUlT_E0_NS1_11comp_targetILNS1_3genE10ELNS1_11target_archE1201ELNS1_3gpuE5ELNS1_3repE0EEENS1_30default_config_static_selectorELNS0_4arch9wavefront6targetE0EEEvSR_.uses_flat_scratch, 0
	.set _ZN7rocprim17ROCPRIM_400000_NS6detail17trampoline_kernelINS0_14default_configENS1_22reduce_config_selectorI18summary_stats_dataIfEEEZNS1_11reduce_implILb1ES3_N6thrust23THRUST_200600_302600_NS11hip_rocprim26transform_input_iterator_tIS6_NSA_6detail15normal_iteratorINSA_10device_ptrIfEEEE22summary_stats_unary_opIfEEEPS6_S6_23summary_stats_binary_opIfEEE10hipError_tPvRmT1_T2_T3_mT4_P12ihipStream_tbEUlT_E0_NS1_11comp_targetILNS1_3genE10ELNS1_11target_archE1201ELNS1_3gpuE5ELNS1_3repE0EEENS1_30default_config_static_selectorELNS0_4arch9wavefront6targetE0EEEvSR_.has_dyn_sized_stack, 0
	.set _ZN7rocprim17ROCPRIM_400000_NS6detail17trampoline_kernelINS0_14default_configENS1_22reduce_config_selectorI18summary_stats_dataIfEEEZNS1_11reduce_implILb1ES3_N6thrust23THRUST_200600_302600_NS11hip_rocprim26transform_input_iterator_tIS6_NSA_6detail15normal_iteratorINSA_10device_ptrIfEEEE22summary_stats_unary_opIfEEEPS6_S6_23summary_stats_binary_opIfEEE10hipError_tPvRmT1_T2_T3_mT4_P12ihipStream_tbEUlT_E0_NS1_11comp_targetILNS1_3genE10ELNS1_11target_archE1201ELNS1_3gpuE5ELNS1_3repE0EEENS1_30default_config_static_selectorELNS0_4arch9wavefront6targetE0EEEvSR_.has_recursion, 0
	.set _ZN7rocprim17ROCPRIM_400000_NS6detail17trampoline_kernelINS0_14default_configENS1_22reduce_config_selectorI18summary_stats_dataIfEEEZNS1_11reduce_implILb1ES3_N6thrust23THRUST_200600_302600_NS11hip_rocprim26transform_input_iterator_tIS6_NSA_6detail15normal_iteratorINSA_10device_ptrIfEEEE22summary_stats_unary_opIfEEEPS6_S6_23summary_stats_binary_opIfEEE10hipError_tPvRmT1_T2_T3_mT4_P12ihipStream_tbEUlT_E0_NS1_11comp_targetILNS1_3genE10ELNS1_11target_archE1201ELNS1_3gpuE5ELNS1_3repE0EEENS1_30default_config_static_selectorELNS0_4arch9wavefront6targetE0EEEvSR_.has_indirect_call, 0
	.section	.AMDGPU.csdata,"",@progbits
; Kernel info:
; codeLenInByte = 0
; TotalNumSgprs: 0
; NumVgprs: 0
; ScratchSize: 0
; MemoryBound: 0
; FloatMode: 240
; IeeeMode: 1
; LDSByteSize: 0 bytes/workgroup (compile time only)
; SGPRBlocks: 0
; VGPRBlocks: 0
; NumSGPRsForWavesPerEU: 1
; NumVGPRsForWavesPerEU: 1
; Occupancy: 16
; WaveLimiterHint : 0
; COMPUTE_PGM_RSRC2:SCRATCH_EN: 0
; COMPUTE_PGM_RSRC2:USER_SGPR: 6
; COMPUTE_PGM_RSRC2:TRAP_HANDLER: 0
; COMPUTE_PGM_RSRC2:TGID_X_EN: 1
; COMPUTE_PGM_RSRC2:TGID_Y_EN: 0
; COMPUTE_PGM_RSRC2:TGID_Z_EN: 0
; COMPUTE_PGM_RSRC2:TIDIG_COMP_CNT: 0
	.section	.text._ZN7rocprim17ROCPRIM_400000_NS6detail17trampoline_kernelINS0_14default_configENS1_22reduce_config_selectorI18summary_stats_dataIfEEEZNS1_11reduce_implILb1ES3_N6thrust23THRUST_200600_302600_NS11hip_rocprim26transform_input_iterator_tIS6_NSA_6detail15normal_iteratorINSA_10device_ptrIfEEEE22summary_stats_unary_opIfEEEPS6_S6_23summary_stats_binary_opIfEEE10hipError_tPvRmT1_T2_T3_mT4_P12ihipStream_tbEUlT_E0_NS1_11comp_targetILNS1_3genE10ELNS1_11target_archE1200ELNS1_3gpuE4ELNS1_3repE0EEENS1_30default_config_static_selectorELNS0_4arch9wavefront6targetE0EEEvSR_,"axG",@progbits,_ZN7rocprim17ROCPRIM_400000_NS6detail17trampoline_kernelINS0_14default_configENS1_22reduce_config_selectorI18summary_stats_dataIfEEEZNS1_11reduce_implILb1ES3_N6thrust23THRUST_200600_302600_NS11hip_rocprim26transform_input_iterator_tIS6_NSA_6detail15normal_iteratorINSA_10device_ptrIfEEEE22summary_stats_unary_opIfEEEPS6_S6_23summary_stats_binary_opIfEEE10hipError_tPvRmT1_T2_T3_mT4_P12ihipStream_tbEUlT_E0_NS1_11comp_targetILNS1_3genE10ELNS1_11target_archE1200ELNS1_3gpuE4ELNS1_3repE0EEENS1_30default_config_static_selectorELNS0_4arch9wavefront6targetE0EEEvSR_,comdat
	.protected	_ZN7rocprim17ROCPRIM_400000_NS6detail17trampoline_kernelINS0_14default_configENS1_22reduce_config_selectorI18summary_stats_dataIfEEEZNS1_11reduce_implILb1ES3_N6thrust23THRUST_200600_302600_NS11hip_rocprim26transform_input_iterator_tIS6_NSA_6detail15normal_iteratorINSA_10device_ptrIfEEEE22summary_stats_unary_opIfEEEPS6_S6_23summary_stats_binary_opIfEEE10hipError_tPvRmT1_T2_T3_mT4_P12ihipStream_tbEUlT_E0_NS1_11comp_targetILNS1_3genE10ELNS1_11target_archE1200ELNS1_3gpuE4ELNS1_3repE0EEENS1_30default_config_static_selectorELNS0_4arch9wavefront6targetE0EEEvSR_ ; -- Begin function _ZN7rocprim17ROCPRIM_400000_NS6detail17trampoline_kernelINS0_14default_configENS1_22reduce_config_selectorI18summary_stats_dataIfEEEZNS1_11reduce_implILb1ES3_N6thrust23THRUST_200600_302600_NS11hip_rocprim26transform_input_iterator_tIS6_NSA_6detail15normal_iteratorINSA_10device_ptrIfEEEE22summary_stats_unary_opIfEEEPS6_S6_23summary_stats_binary_opIfEEE10hipError_tPvRmT1_T2_T3_mT4_P12ihipStream_tbEUlT_E0_NS1_11comp_targetILNS1_3genE10ELNS1_11target_archE1200ELNS1_3gpuE4ELNS1_3repE0EEENS1_30default_config_static_selectorELNS0_4arch9wavefront6targetE0EEEvSR_
	.globl	_ZN7rocprim17ROCPRIM_400000_NS6detail17trampoline_kernelINS0_14default_configENS1_22reduce_config_selectorI18summary_stats_dataIfEEEZNS1_11reduce_implILb1ES3_N6thrust23THRUST_200600_302600_NS11hip_rocprim26transform_input_iterator_tIS6_NSA_6detail15normal_iteratorINSA_10device_ptrIfEEEE22summary_stats_unary_opIfEEEPS6_S6_23summary_stats_binary_opIfEEE10hipError_tPvRmT1_T2_T3_mT4_P12ihipStream_tbEUlT_E0_NS1_11comp_targetILNS1_3genE10ELNS1_11target_archE1200ELNS1_3gpuE4ELNS1_3repE0EEENS1_30default_config_static_selectorELNS0_4arch9wavefront6targetE0EEEvSR_
	.p2align	8
	.type	_ZN7rocprim17ROCPRIM_400000_NS6detail17trampoline_kernelINS0_14default_configENS1_22reduce_config_selectorI18summary_stats_dataIfEEEZNS1_11reduce_implILb1ES3_N6thrust23THRUST_200600_302600_NS11hip_rocprim26transform_input_iterator_tIS6_NSA_6detail15normal_iteratorINSA_10device_ptrIfEEEE22summary_stats_unary_opIfEEEPS6_S6_23summary_stats_binary_opIfEEE10hipError_tPvRmT1_T2_T3_mT4_P12ihipStream_tbEUlT_E0_NS1_11comp_targetILNS1_3genE10ELNS1_11target_archE1200ELNS1_3gpuE4ELNS1_3repE0EEENS1_30default_config_static_selectorELNS0_4arch9wavefront6targetE0EEEvSR_,@function
_ZN7rocprim17ROCPRIM_400000_NS6detail17trampoline_kernelINS0_14default_configENS1_22reduce_config_selectorI18summary_stats_dataIfEEEZNS1_11reduce_implILb1ES3_N6thrust23THRUST_200600_302600_NS11hip_rocprim26transform_input_iterator_tIS6_NSA_6detail15normal_iteratorINSA_10device_ptrIfEEEE22summary_stats_unary_opIfEEEPS6_S6_23summary_stats_binary_opIfEEE10hipError_tPvRmT1_T2_T3_mT4_P12ihipStream_tbEUlT_E0_NS1_11comp_targetILNS1_3genE10ELNS1_11target_archE1200ELNS1_3gpuE4ELNS1_3repE0EEENS1_30default_config_static_selectorELNS0_4arch9wavefront6targetE0EEEvSR_: ; @_ZN7rocprim17ROCPRIM_400000_NS6detail17trampoline_kernelINS0_14default_configENS1_22reduce_config_selectorI18summary_stats_dataIfEEEZNS1_11reduce_implILb1ES3_N6thrust23THRUST_200600_302600_NS11hip_rocprim26transform_input_iterator_tIS6_NSA_6detail15normal_iteratorINSA_10device_ptrIfEEEE22summary_stats_unary_opIfEEEPS6_S6_23summary_stats_binary_opIfEEE10hipError_tPvRmT1_T2_T3_mT4_P12ihipStream_tbEUlT_E0_NS1_11comp_targetILNS1_3genE10ELNS1_11target_archE1200ELNS1_3gpuE4ELNS1_3repE0EEENS1_30default_config_static_selectorELNS0_4arch9wavefront6targetE0EEEvSR_
; %bb.0:
	.section	.rodata,"a",@progbits
	.p2align	6, 0x0
	.amdhsa_kernel _ZN7rocprim17ROCPRIM_400000_NS6detail17trampoline_kernelINS0_14default_configENS1_22reduce_config_selectorI18summary_stats_dataIfEEEZNS1_11reduce_implILb1ES3_N6thrust23THRUST_200600_302600_NS11hip_rocprim26transform_input_iterator_tIS6_NSA_6detail15normal_iteratorINSA_10device_ptrIfEEEE22summary_stats_unary_opIfEEEPS6_S6_23summary_stats_binary_opIfEEE10hipError_tPvRmT1_T2_T3_mT4_P12ihipStream_tbEUlT_E0_NS1_11comp_targetILNS1_3genE10ELNS1_11target_archE1200ELNS1_3gpuE4ELNS1_3repE0EEENS1_30default_config_static_selectorELNS0_4arch9wavefront6targetE0EEEvSR_
		.amdhsa_group_segment_fixed_size 0
		.amdhsa_private_segment_fixed_size 0
		.amdhsa_kernarg_size 88
		.amdhsa_user_sgpr_count 6
		.amdhsa_user_sgpr_private_segment_buffer 1
		.amdhsa_user_sgpr_dispatch_ptr 0
		.amdhsa_user_sgpr_queue_ptr 0
		.amdhsa_user_sgpr_kernarg_segment_ptr 1
		.amdhsa_user_sgpr_dispatch_id 0
		.amdhsa_user_sgpr_flat_scratch_init 0
		.amdhsa_user_sgpr_private_segment_size 0
		.amdhsa_wavefront_size32 1
		.amdhsa_uses_dynamic_stack 0
		.amdhsa_system_sgpr_private_segment_wavefront_offset 0
		.amdhsa_system_sgpr_workgroup_id_x 1
		.amdhsa_system_sgpr_workgroup_id_y 0
		.amdhsa_system_sgpr_workgroup_id_z 0
		.amdhsa_system_sgpr_workgroup_info 0
		.amdhsa_system_vgpr_workitem_id 0
		.amdhsa_next_free_vgpr 1
		.amdhsa_next_free_sgpr 1
		.amdhsa_reserve_vcc 0
		.amdhsa_reserve_flat_scratch 0
		.amdhsa_float_round_mode_32 0
		.amdhsa_float_round_mode_16_64 0
		.amdhsa_float_denorm_mode_32 3
		.amdhsa_float_denorm_mode_16_64 3
		.amdhsa_dx10_clamp 1
		.amdhsa_ieee_mode 1
		.amdhsa_fp16_overflow 0
		.amdhsa_workgroup_processor_mode 1
		.amdhsa_memory_ordered 1
		.amdhsa_forward_progress 1
		.amdhsa_shared_vgpr_count 0
		.amdhsa_exception_fp_ieee_invalid_op 0
		.amdhsa_exception_fp_denorm_src 0
		.amdhsa_exception_fp_ieee_div_zero 0
		.amdhsa_exception_fp_ieee_overflow 0
		.amdhsa_exception_fp_ieee_underflow 0
		.amdhsa_exception_fp_ieee_inexact 0
		.amdhsa_exception_int_div_zero 0
	.end_amdhsa_kernel
	.section	.text._ZN7rocprim17ROCPRIM_400000_NS6detail17trampoline_kernelINS0_14default_configENS1_22reduce_config_selectorI18summary_stats_dataIfEEEZNS1_11reduce_implILb1ES3_N6thrust23THRUST_200600_302600_NS11hip_rocprim26transform_input_iterator_tIS6_NSA_6detail15normal_iteratorINSA_10device_ptrIfEEEE22summary_stats_unary_opIfEEEPS6_S6_23summary_stats_binary_opIfEEE10hipError_tPvRmT1_T2_T3_mT4_P12ihipStream_tbEUlT_E0_NS1_11comp_targetILNS1_3genE10ELNS1_11target_archE1200ELNS1_3gpuE4ELNS1_3repE0EEENS1_30default_config_static_selectorELNS0_4arch9wavefront6targetE0EEEvSR_,"axG",@progbits,_ZN7rocprim17ROCPRIM_400000_NS6detail17trampoline_kernelINS0_14default_configENS1_22reduce_config_selectorI18summary_stats_dataIfEEEZNS1_11reduce_implILb1ES3_N6thrust23THRUST_200600_302600_NS11hip_rocprim26transform_input_iterator_tIS6_NSA_6detail15normal_iteratorINSA_10device_ptrIfEEEE22summary_stats_unary_opIfEEEPS6_S6_23summary_stats_binary_opIfEEE10hipError_tPvRmT1_T2_T3_mT4_P12ihipStream_tbEUlT_E0_NS1_11comp_targetILNS1_3genE10ELNS1_11target_archE1200ELNS1_3gpuE4ELNS1_3repE0EEENS1_30default_config_static_selectorELNS0_4arch9wavefront6targetE0EEEvSR_,comdat
.Lfunc_end24:
	.size	_ZN7rocprim17ROCPRIM_400000_NS6detail17trampoline_kernelINS0_14default_configENS1_22reduce_config_selectorI18summary_stats_dataIfEEEZNS1_11reduce_implILb1ES3_N6thrust23THRUST_200600_302600_NS11hip_rocprim26transform_input_iterator_tIS6_NSA_6detail15normal_iteratorINSA_10device_ptrIfEEEE22summary_stats_unary_opIfEEEPS6_S6_23summary_stats_binary_opIfEEE10hipError_tPvRmT1_T2_T3_mT4_P12ihipStream_tbEUlT_E0_NS1_11comp_targetILNS1_3genE10ELNS1_11target_archE1200ELNS1_3gpuE4ELNS1_3repE0EEENS1_30default_config_static_selectorELNS0_4arch9wavefront6targetE0EEEvSR_, .Lfunc_end24-_ZN7rocprim17ROCPRIM_400000_NS6detail17trampoline_kernelINS0_14default_configENS1_22reduce_config_selectorI18summary_stats_dataIfEEEZNS1_11reduce_implILb1ES3_N6thrust23THRUST_200600_302600_NS11hip_rocprim26transform_input_iterator_tIS6_NSA_6detail15normal_iteratorINSA_10device_ptrIfEEEE22summary_stats_unary_opIfEEEPS6_S6_23summary_stats_binary_opIfEEE10hipError_tPvRmT1_T2_T3_mT4_P12ihipStream_tbEUlT_E0_NS1_11comp_targetILNS1_3genE10ELNS1_11target_archE1200ELNS1_3gpuE4ELNS1_3repE0EEENS1_30default_config_static_selectorELNS0_4arch9wavefront6targetE0EEEvSR_
                                        ; -- End function
	.set _ZN7rocprim17ROCPRIM_400000_NS6detail17trampoline_kernelINS0_14default_configENS1_22reduce_config_selectorI18summary_stats_dataIfEEEZNS1_11reduce_implILb1ES3_N6thrust23THRUST_200600_302600_NS11hip_rocprim26transform_input_iterator_tIS6_NSA_6detail15normal_iteratorINSA_10device_ptrIfEEEE22summary_stats_unary_opIfEEEPS6_S6_23summary_stats_binary_opIfEEE10hipError_tPvRmT1_T2_T3_mT4_P12ihipStream_tbEUlT_E0_NS1_11comp_targetILNS1_3genE10ELNS1_11target_archE1200ELNS1_3gpuE4ELNS1_3repE0EEENS1_30default_config_static_selectorELNS0_4arch9wavefront6targetE0EEEvSR_.num_vgpr, 0
	.set _ZN7rocprim17ROCPRIM_400000_NS6detail17trampoline_kernelINS0_14default_configENS1_22reduce_config_selectorI18summary_stats_dataIfEEEZNS1_11reduce_implILb1ES3_N6thrust23THRUST_200600_302600_NS11hip_rocprim26transform_input_iterator_tIS6_NSA_6detail15normal_iteratorINSA_10device_ptrIfEEEE22summary_stats_unary_opIfEEEPS6_S6_23summary_stats_binary_opIfEEE10hipError_tPvRmT1_T2_T3_mT4_P12ihipStream_tbEUlT_E0_NS1_11comp_targetILNS1_3genE10ELNS1_11target_archE1200ELNS1_3gpuE4ELNS1_3repE0EEENS1_30default_config_static_selectorELNS0_4arch9wavefront6targetE0EEEvSR_.num_agpr, 0
	.set _ZN7rocprim17ROCPRIM_400000_NS6detail17trampoline_kernelINS0_14default_configENS1_22reduce_config_selectorI18summary_stats_dataIfEEEZNS1_11reduce_implILb1ES3_N6thrust23THRUST_200600_302600_NS11hip_rocprim26transform_input_iterator_tIS6_NSA_6detail15normal_iteratorINSA_10device_ptrIfEEEE22summary_stats_unary_opIfEEEPS6_S6_23summary_stats_binary_opIfEEE10hipError_tPvRmT1_T2_T3_mT4_P12ihipStream_tbEUlT_E0_NS1_11comp_targetILNS1_3genE10ELNS1_11target_archE1200ELNS1_3gpuE4ELNS1_3repE0EEENS1_30default_config_static_selectorELNS0_4arch9wavefront6targetE0EEEvSR_.numbered_sgpr, 0
	.set _ZN7rocprim17ROCPRIM_400000_NS6detail17trampoline_kernelINS0_14default_configENS1_22reduce_config_selectorI18summary_stats_dataIfEEEZNS1_11reduce_implILb1ES3_N6thrust23THRUST_200600_302600_NS11hip_rocprim26transform_input_iterator_tIS6_NSA_6detail15normal_iteratorINSA_10device_ptrIfEEEE22summary_stats_unary_opIfEEEPS6_S6_23summary_stats_binary_opIfEEE10hipError_tPvRmT1_T2_T3_mT4_P12ihipStream_tbEUlT_E0_NS1_11comp_targetILNS1_3genE10ELNS1_11target_archE1200ELNS1_3gpuE4ELNS1_3repE0EEENS1_30default_config_static_selectorELNS0_4arch9wavefront6targetE0EEEvSR_.num_named_barrier, 0
	.set _ZN7rocprim17ROCPRIM_400000_NS6detail17trampoline_kernelINS0_14default_configENS1_22reduce_config_selectorI18summary_stats_dataIfEEEZNS1_11reduce_implILb1ES3_N6thrust23THRUST_200600_302600_NS11hip_rocprim26transform_input_iterator_tIS6_NSA_6detail15normal_iteratorINSA_10device_ptrIfEEEE22summary_stats_unary_opIfEEEPS6_S6_23summary_stats_binary_opIfEEE10hipError_tPvRmT1_T2_T3_mT4_P12ihipStream_tbEUlT_E0_NS1_11comp_targetILNS1_3genE10ELNS1_11target_archE1200ELNS1_3gpuE4ELNS1_3repE0EEENS1_30default_config_static_selectorELNS0_4arch9wavefront6targetE0EEEvSR_.private_seg_size, 0
	.set _ZN7rocprim17ROCPRIM_400000_NS6detail17trampoline_kernelINS0_14default_configENS1_22reduce_config_selectorI18summary_stats_dataIfEEEZNS1_11reduce_implILb1ES3_N6thrust23THRUST_200600_302600_NS11hip_rocprim26transform_input_iterator_tIS6_NSA_6detail15normal_iteratorINSA_10device_ptrIfEEEE22summary_stats_unary_opIfEEEPS6_S6_23summary_stats_binary_opIfEEE10hipError_tPvRmT1_T2_T3_mT4_P12ihipStream_tbEUlT_E0_NS1_11comp_targetILNS1_3genE10ELNS1_11target_archE1200ELNS1_3gpuE4ELNS1_3repE0EEENS1_30default_config_static_selectorELNS0_4arch9wavefront6targetE0EEEvSR_.uses_vcc, 0
	.set _ZN7rocprim17ROCPRIM_400000_NS6detail17trampoline_kernelINS0_14default_configENS1_22reduce_config_selectorI18summary_stats_dataIfEEEZNS1_11reduce_implILb1ES3_N6thrust23THRUST_200600_302600_NS11hip_rocprim26transform_input_iterator_tIS6_NSA_6detail15normal_iteratorINSA_10device_ptrIfEEEE22summary_stats_unary_opIfEEEPS6_S6_23summary_stats_binary_opIfEEE10hipError_tPvRmT1_T2_T3_mT4_P12ihipStream_tbEUlT_E0_NS1_11comp_targetILNS1_3genE10ELNS1_11target_archE1200ELNS1_3gpuE4ELNS1_3repE0EEENS1_30default_config_static_selectorELNS0_4arch9wavefront6targetE0EEEvSR_.uses_flat_scratch, 0
	.set _ZN7rocprim17ROCPRIM_400000_NS6detail17trampoline_kernelINS0_14default_configENS1_22reduce_config_selectorI18summary_stats_dataIfEEEZNS1_11reduce_implILb1ES3_N6thrust23THRUST_200600_302600_NS11hip_rocprim26transform_input_iterator_tIS6_NSA_6detail15normal_iteratorINSA_10device_ptrIfEEEE22summary_stats_unary_opIfEEEPS6_S6_23summary_stats_binary_opIfEEE10hipError_tPvRmT1_T2_T3_mT4_P12ihipStream_tbEUlT_E0_NS1_11comp_targetILNS1_3genE10ELNS1_11target_archE1200ELNS1_3gpuE4ELNS1_3repE0EEENS1_30default_config_static_selectorELNS0_4arch9wavefront6targetE0EEEvSR_.has_dyn_sized_stack, 0
	.set _ZN7rocprim17ROCPRIM_400000_NS6detail17trampoline_kernelINS0_14default_configENS1_22reduce_config_selectorI18summary_stats_dataIfEEEZNS1_11reduce_implILb1ES3_N6thrust23THRUST_200600_302600_NS11hip_rocprim26transform_input_iterator_tIS6_NSA_6detail15normal_iteratorINSA_10device_ptrIfEEEE22summary_stats_unary_opIfEEEPS6_S6_23summary_stats_binary_opIfEEE10hipError_tPvRmT1_T2_T3_mT4_P12ihipStream_tbEUlT_E0_NS1_11comp_targetILNS1_3genE10ELNS1_11target_archE1200ELNS1_3gpuE4ELNS1_3repE0EEENS1_30default_config_static_selectorELNS0_4arch9wavefront6targetE0EEEvSR_.has_recursion, 0
	.set _ZN7rocprim17ROCPRIM_400000_NS6detail17trampoline_kernelINS0_14default_configENS1_22reduce_config_selectorI18summary_stats_dataIfEEEZNS1_11reduce_implILb1ES3_N6thrust23THRUST_200600_302600_NS11hip_rocprim26transform_input_iterator_tIS6_NSA_6detail15normal_iteratorINSA_10device_ptrIfEEEE22summary_stats_unary_opIfEEEPS6_S6_23summary_stats_binary_opIfEEE10hipError_tPvRmT1_T2_T3_mT4_P12ihipStream_tbEUlT_E0_NS1_11comp_targetILNS1_3genE10ELNS1_11target_archE1200ELNS1_3gpuE4ELNS1_3repE0EEENS1_30default_config_static_selectorELNS0_4arch9wavefront6targetE0EEEvSR_.has_indirect_call, 0
	.section	.AMDGPU.csdata,"",@progbits
; Kernel info:
; codeLenInByte = 0
; TotalNumSgprs: 0
; NumVgprs: 0
; ScratchSize: 0
; MemoryBound: 0
; FloatMode: 240
; IeeeMode: 1
; LDSByteSize: 0 bytes/workgroup (compile time only)
; SGPRBlocks: 0
; VGPRBlocks: 0
; NumSGPRsForWavesPerEU: 1
; NumVGPRsForWavesPerEU: 1
; Occupancy: 16
; WaveLimiterHint : 0
; COMPUTE_PGM_RSRC2:SCRATCH_EN: 0
; COMPUTE_PGM_RSRC2:USER_SGPR: 6
; COMPUTE_PGM_RSRC2:TRAP_HANDLER: 0
; COMPUTE_PGM_RSRC2:TGID_X_EN: 1
; COMPUTE_PGM_RSRC2:TGID_Y_EN: 0
; COMPUTE_PGM_RSRC2:TGID_Z_EN: 0
; COMPUTE_PGM_RSRC2:TIDIG_COMP_CNT: 0
	.section	.text._ZN7rocprim17ROCPRIM_400000_NS6detail17trampoline_kernelINS0_14default_configENS1_22reduce_config_selectorI18summary_stats_dataIfEEEZNS1_11reduce_implILb1ES3_N6thrust23THRUST_200600_302600_NS11hip_rocprim26transform_input_iterator_tIS6_NSA_6detail15normal_iteratorINSA_10device_ptrIfEEEE22summary_stats_unary_opIfEEEPS6_S6_23summary_stats_binary_opIfEEE10hipError_tPvRmT1_T2_T3_mT4_P12ihipStream_tbEUlT_E0_NS1_11comp_targetILNS1_3genE9ELNS1_11target_archE1100ELNS1_3gpuE3ELNS1_3repE0EEENS1_30default_config_static_selectorELNS0_4arch9wavefront6targetE0EEEvSR_,"axG",@progbits,_ZN7rocprim17ROCPRIM_400000_NS6detail17trampoline_kernelINS0_14default_configENS1_22reduce_config_selectorI18summary_stats_dataIfEEEZNS1_11reduce_implILb1ES3_N6thrust23THRUST_200600_302600_NS11hip_rocprim26transform_input_iterator_tIS6_NSA_6detail15normal_iteratorINSA_10device_ptrIfEEEE22summary_stats_unary_opIfEEEPS6_S6_23summary_stats_binary_opIfEEE10hipError_tPvRmT1_T2_T3_mT4_P12ihipStream_tbEUlT_E0_NS1_11comp_targetILNS1_3genE9ELNS1_11target_archE1100ELNS1_3gpuE3ELNS1_3repE0EEENS1_30default_config_static_selectorELNS0_4arch9wavefront6targetE0EEEvSR_,comdat
	.protected	_ZN7rocprim17ROCPRIM_400000_NS6detail17trampoline_kernelINS0_14default_configENS1_22reduce_config_selectorI18summary_stats_dataIfEEEZNS1_11reduce_implILb1ES3_N6thrust23THRUST_200600_302600_NS11hip_rocprim26transform_input_iterator_tIS6_NSA_6detail15normal_iteratorINSA_10device_ptrIfEEEE22summary_stats_unary_opIfEEEPS6_S6_23summary_stats_binary_opIfEEE10hipError_tPvRmT1_T2_T3_mT4_P12ihipStream_tbEUlT_E0_NS1_11comp_targetILNS1_3genE9ELNS1_11target_archE1100ELNS1_3gpuE3ELNS1_3repE0EEENS1_30default_config_static_selectorELNS0_4arch9wavefront6targetE0EEEvSR_ ; -- Begin function _ZN7rocprim17ROCPRIM_400000_NS6detail17trampoline_kernelINS0_14default_configENS1_22reduce_config_selectorI18summary_stats_dataIfEEEZNS1_11reduce_implILb1ES3_N6thrust23THRUST_200600_302600_NS11hip_rocprim26transform_input_iterator_tIS6_NSA_6detail15normal_iteratorINSA_10device_ptrIfEEEE22summary_stats_unary_opIfEEEPS6_S6_23summary_stats_binary_opIfEEE10hipError_tPvRmT1_T2_T3_mT4_P12ihipStream_tbEUlT_E0_NS1_11comp_targetILNS1_3genE9ELNS1_11target_archE1100ELNS1_3gpuE3ELNS1_3repE0EEENS1_30default_config_static_selectorELNS0_4arch9wavefront6targetE0EEEvSR_
	.globl	_ZN7rocprim17ROCPRIM_400000_NS6detail17trampoline_kernelINS0_14default_configENS1_22reduce_config_selectorI18summary_stats_dataIfEEEZNS1_11reduce_implILb1ES3_N6thrust23THRUST_200600_302600_NS11hip_rocprim26transform_input_iterator_tIS6_NSA_6detail15normal_iteratorINSA_10device_ptrIfEEEE22summary_stats_unary_opIfEEEPS6_S6_23summary_stats_binary_opIfEEE10hipError_tPvRmT1_T2_T3_mT4_P12ihipStream_tbEUlT_E0_NS1_11comp_targetILNS1_3genE9ELNS1_11target_archE1100ELNS1_3gpuE3ELNS1_3repE0EEENS1_30default_config_static_selectorELNS0_4arch9wavefront6targetE0EEEvSR_
	.p2align	8
	.type	_ZN7rocprim17ROCPRIM_400000_NS6detail17trampoline_kernelINS0_14default_configENS1_22reduce_config_selectorI18summary_stats_dataIfEEEZNS1_11reduce_implILb1ES3_N6thrust23THRUST_200600_302600_NS11hip_rocprim26transform_input_iterator_tIS6_NSA_6detail15normal_iteratorINSA_10device_ptrIfEEEE22summary_stats_unary_opIfEEEPS6_S6_23summary_stats_binary_opIfEEE10hipError_tPvRmT1_T2_T3_mT4_P12ihipStream_tbEUlT_E0_NS1_11comp_targetILNS1_3genE9ELNS1_11target_archE1100ELNS1_3gpuE3ELNS1_3repE0EEENS1_30default_config_static_selectorELNS0_4arch9wavefront6targetE0EEEvSR_,@function
_ZN7rocprim17ROCPRIM_400000_NS6detail17trampoline_kernelINS0_14default_configENS1_22reduce_config_selectorI18summary_stats_dataIfEEEZNS1_11reduce_implILb1ES3_N6thrust23THRUST_200600_302600_NS11hip_rocprim26transform_input_iterator_tIS6_NSA_6detail15normal_iteratorINSA_10device_ptrIfEEEE22summary_stats_unary_opIfEEEPS6_S6_23summary_stats_binary_opIfEEE10hipError_tPvRmT1_T2_T3_mT4_P12ihipStream_tbEUlT_E0_NS1_11comp_targetILNS1_3genE9ELNS1_11target_archE1100ELNS1_3gpuE3ELNS1_3repE0EEENS1_30default_config_static_selectorELNS0_4arch9wavefront6targetE0EEEvSR_: ; @_ZN7rocprim17ROCPRIM_400000_NS6detail17trampoline_kernelINS0_14default_configENS1_22reduce_config_selectorI18summary_stats_dataIfEEEZNS1_11reduce_implILb1ES3_N6thrust23THRUST_200600_302600_NS11hip_rocprim26transform_input_iterator_tIS6_NSA_6detail15normal_iteratorINSA_10device_ptrIfEEEE22summary_stats_unary_opIfEEEPS6_S6_23summary_stats_binary_opIfEEE10hipError_tPvRmT1_T2_T3_mT4_P12ihipStream_tbEUlT_E0_NS1_11comp_targetILNS1_3genE9ELNS1_11target_archE1100ELNS1_3gpuE3ELNS1_3repE0EEENS1_30default_config_static_selectorELNS0_4arch9wavefront6targetE0EEEvSR_
; %bb.0:
	.section	.rodata,"a",@progbits
	.p2align	6, 0x0
	.amdhsa_kernel _ZN7rocprim17ROCPRIM_400000_NS6detail17trampoline_kernelINS0_14default_configENS1_22reduce_config_selectorI18summary_stats_dataIfEEEZNS1_11reduce_implILb1ES3_N6thrust23THRUST_200600_302600_NS11hip_rocprim26transform_input_iterator_tIS6_NSA_6detail15normal_iteratorINSA_10device_ptrIfEEEE22summary_stats_unary_opIfEEEPS6_S6_23summary_stats_binary_opIfEEE10hipError_tPvRmT1_T2_T3_mT4_P12ihipStream_tbEUlT_E0_NS1_11comp_targetILNS1_3genE9ELNS1_11target_archE1100ELNS1_3gpuE3ELNS1_3repE0EEENS1_30default_config_static_selectorELNS0_4arch9wavefront6targetE0EEEvSR_
		.amdhsa_group_segment_fixed_size 0
		.amdhsa_private_segment_fixed_size 0
		.amdhsa_kernarg_size 88
		.amdhsa_user_sgpr_count 6
		.amdhsa_user_sgpr_private_segment_buffer 1
		.amdhsa_user_sgpr_dispatch_ptr 0
		.amdhsa_user_sgpr_queue_ptr 0
		.amdhsa_user_sgpr_kernarg_segment_ptr 1
		.amdhsa_user_sgpr_dispatch_id 0
		.amdhsa_user_sgpr_flat_scratch_init 0
		.amdhsa_user_sgpr_private_segment_size 0
		.amdhsa_wavefront_size32 1
		.amdhsa_uses_dynamic_stack 0
		.amdhsa_system_sgpr_private_segment_wavefront_offset 0
		.amdhsa_system_sgpr_workgroup_id_x 1
		.amdhsa_system_sgpr_workgroup_id_y 0
		.amdhsa_system_sgpr_workgroup_id_z 0
		.amdhsa_system_sgpr_workgroup_info 0
		.amdhsa_system_vgpr_workitem_id 0
		.amdhsa_next_free_vgpr 1
		.amdhsa_next_free_sgpr 1
		.amdhsa_reserve_vcc 0
		.amdhsa_reserve_flat_scratch 0
		.amdhsa_float_round_mode_32 0
		.amdhsa_float_round_mode_16_64 0
		.amdhsa_float_denorm_mode_32 3
		.amdhsa_float_denorm_mode_16_64 3
		.amdhsa_dx10_clamp 1
		.amdhsa_ieee_mode 1
		.amdhsa_fp16_overflow 0
		.amdhsa_workgroup_processor_mode 1
		.amdhsa_memory_ordered 1
		.amdhsa_forward_progress 1
		.amdhsa_shared_vgpr_count 0
		.amdhsa_exception_fp_ieee_invalid_op 0
		.amdhsa_exception_fp_denorm_src 0
		.amdhsa_exception_fp_ieee_div_zero 0
		.amdhsa_exception_fp_ieee_overflow 0
		.amdhsa_exception_fp_ieee_underflow 0
		.amdhsa_exception_fp_ieee_inexact 0
		.amdhsa_exception_int_div_zero 0
	.end_amdhsa_kernel
	.section	.text._ZN7rocprim17ROCPRIM_400000_NS6detail17trampoline_kernelINS0_14default_configENS1_22reduce_config_selectorI18summary_stats_dataIfEEEZNS1_11reduce_implILb1ES3_N6thrust23THRUST_200600_302600_NS11hip_rocprim26transform_input_iterator_tIS6_NSA_6detail15normal_iteratorINSA_10device_ptrIfEEEE22summary_stats_unary_opIfEEEPS6_S6_23summary_stats_binary_opIfEEE10hipError_tPvRmT1_T2_T3_mT4_P12ihipStream_tbEUlT_E0_NS1_11comp_targetILNS1_3genE9ELNS1_11target_archE1100ELNS1_3gpuE3ELNS1_3repE0EEENS1_30default_config_static_selectorELNS0_4arch9wavefront6targetE0EEEvSR_,"axG",@progbits,_ZN7rocprim17ROCPRIM_400000_NS6detail17trampoline_kernelINS0_14default_configENS1_22reduce_config_selectorI18summary_stats_dataIfEEEZNS1_11reduce_implILb1ES3_N6thrust23THRUST_200600_302600_NS11hip_rocprim26transform_input_iterator_tIS6_NSA_6detail15normal_iteratorINSA_10device_ptrIfEEEE22summary_stats_unary_opIfEEEPS6_S6_23summary_stats_binary_opIfEEE10hipError_tPvRmT1_T2_T3_mT4_P12ihipStream_tbEUlT_E0_NS1_11comp_targetILNS1_3genE9ELNS1_11target_archE1100ELNS1_3gpuE3ELNS1_3repE0EEENS1_30default_config_static_selectorELNS0_4arch9wavefront6targetE0EEEvSR_,comdat
.Lfunc_end25:
	.size	_ZN7rocprim17ROCPRIM_400000_NS6detail17trampoline_kernelINS0_14default_configENS1_22reduce_config_selectorI18summary_stats_dataIfEEEZNS1_11reduce_implILb1ES3_N6thrust23THRUST_200600_302600_NS11hip_rocprim26transform_input_iterator_tIS6_NSA_6detail15normal_iteratorINSA_10device_ptrIfEEEE22summary_stats_unary_opIfEEEPS6_S6_23summary_stats_binary_opIfEEE10hipError_tPvRmT1_T2_T3_mT4_P12ihipStream_tbEUlT_E0_NS1_11comp_targetILNS1_3genE9ELNS1_11target_archE1100ELNS1_3gpuE3ELNS1_3repE0EEENS1_30default_config_static_selectorELNS0_4arch9wavefront6targetE0EEEvSR_, .Lfunc_end25-_ZN7rocprim17ROCPRIM_400000_NS6detail17trampoline_kernelINS0_14default_configENS1_22reduce_config_selectorI18summary_stats_dataIfEEEZNS1_11reduce_implILb1ES3_N6thrust23THRUST_200600_302600_NS11hip_rocprim26transform_input_iterator_tIS6_NSA_6detail15normal_iteratorINSA_10device_ptrIfEEEE22summary_stats_unary_opIfEEEPS6_S6_23summary_stats_binary_opIfEEE10hipError_tPvRmT1_T2_T3_mT4_P12ihipStream_tbEUlT_E0_NS1_11comp_targetILNS1_3genE9ELNS1_11target_archE1100ELNS1_3gpuE3ELNS1_3repE0EEENS1_30default_config_static_selectorELNS0_4arch9wavefront6targetE0EEEvSR_
                                        ; -- End function
	.set _ZN7rocprim17ROCPRIM_400000_NS6detail17trampoline_kernelINS0_14default_configENS1_22reduce_config_selectorI18summary_stats_dataIfEEEZNS1_11reduce_implILb1ES3_N6thrust23THRUST_200600_302600_NS11hip_rocprim26transform_input_iterator_tIS6_NSA_6detail15normal_iteratorINSA_10device_ptrIfEEEE22summary_stats_unary_opIfEEEPS6_S6_23summary_stats_binary_opIfEEE10hipError_tPvRmT1_T2_T3_mT4_P12ihipStream_tbEUlT_E0_NS1_11comp_targetILNS1_3genE9ELNS1_11target_archE1100ELNS1_3gpuE3ELNS1_3repE0EEENS1_30default_config_static_selectorELNS0_4arch9wavefront6targetE0EEEvSR_.num_vgpr, 0
	.set _ZN7rocprim17ROCPRIM_400000_NS6detail17trampoline_kernelINS0_14default_configENS1_22reduce_config_selectorI18summary_stats_dataIfEEEZNS1_11reduce_implILb1ES3_N6thrust23THRUST_200600_302600_NS11hip_rocprim26transform_input_iterator_tIS6_NSA_6detail15normal_iteratorINSA_10device_ptrIfEEEE22summary_stats_unary_opIfEEEPS6_S6_23summary_stats_binary_opIfEEE10hipError_tPvRmT1_T2_T3_mT4_P12ihipStream_tbEUlT_E0_NS1_11comp_targetILNS1_3genE9ELNS1_11target_archE1100ELNS1_3gpuE3ELNS1_3repE0EEENS1_30default_config_static_selectorELNS0_4arch9wavefront6targetE0EEEvSR_.num_agpr, 0
	.set _ZN7rocprim17ROCPRIM_400000_NS6detail17trampoline_kernelINS0_14default_configENS1_22reduce_config_selectorI18summary_stats_dataIfEEEZNS1_11reduce_implILb1ES3_N6thrust23THRUST_200600_302600_NS11hip_rocprim26transform_input_iterator_tIS6_NSA_6detail15normal_iteratorINSA_10device_ptrIfEEEE22summary_stats_unary_opIfEEEPS6_S6_23summary_stats_binary_opIfEEE10hipError_tPvRmT1_T2_T3_mT4_P12ihipStream_tbEUlT_E0_NS1_11comp_targetILNS1_3genE9ELNS1_11target_archE1100ELNS1_3gpuE3ELNS1_3repE0EEENS1_30default_config_static_selectorELNS0_4arch9wavefront6targetE0EEEvSR_.numbered_sgpr, 0
	.set _ZN7rocprim17ROCPRIM_400000_NS6detail17trampoline_kernelINS0_14default_configENS1_22reduce_config_selectorI18summary_stats_dataIfEEEZNS1_11reduce_implILb1ES3_N6thrust23THRUST_200600_302600_NS11hip_rocprim26transform_input_iterator_tIS6_NSA_6detail15normal_iteratorINSA_10device_ptrIfEEEE22summary_stats_unary_opIfEEEPS6_S6_23summary_stats_binary_opIfEEE10hipError_tPvRmT1_T2_T3_mT4_P12ihipStream_tbEUlT_E0_NS1_11comp_targetILNS1_3genE9ELNS1_11target_archE1100ELNS1_3gpuE3ELNS1_3repE0EEENS1_30default_config_static_selectorELNS0_4arch9wavefront6targetE0EEEvSR_.num_named_barrier, 0
	.set _ZN7rocprim17ROCPRIM_400000_NS6detail17trampoline_kernelINS0_14default_configENS1_22reduce_config_selectorI18summary_stats_dataIfEEEZNS1_11reduce_implILb1ES3_N6thrust23THRUST_200600_302600_NS11hip_rocprim26transform_input_iterator_tIS6_NSA_6detail15normal_iteratorINSA_10device_ptrIfEEEE22summary_stats_unary_opIfEEEPS6_S6_23summary_stats_binary_opIfEEE10hipError_tPvRmT1_T2_T3_mT4_P12ihipStream_tbEUlT_E0_NS1_11comp_targetILNS1_3genE9ELNS1_11target_archE1100ELNS1_3gpuE3ELNS1_3repE0EEENS1_30default_config_static_selectorELNS0_4arch9wavefront6targetE0EEEvSR_.private_seg_size, 0
	.set _ZN7rocprim17ROCPRIM_400000_NS6detail17trampoline_kernelINS0_14default_configENS1_22reduce_config_selectorI18summary_stats_dataIfEEEZNS1_11reduce_implILb1ES3_N6thrust23THRUST_200600_302600_NS11hip_rocprim26transform_input_iterator_tIS6_NSA_6detail15normal_iteratorINSA_10device_ptrIfEEEE22summary_stats_unary_opIfEEEPS6_S6_23summary_stats_binary_opIfEEE10hipError_tPvRmT1_T2_T3_mT4_P12ihipStream_tbEUlT_E0_NS1_11comp_targetILNS1_3genE9ELNS1_11target_archE1100ELNS1_3gpuE3ELNS1_3repE0EEENS1_30default_config_static_selectorELNS0_4arch9wavefront6targetE0EEEvSR_.uses_vcc, 0
	.set _ZN7rocprim17ROCPRIM_400000_NS6detail17trampoline_kernelINS0_14default_configENS1_22reduce_config_selectorI18summary_stats_dataIfEEEZNS1_11reduce_implILb1ES3_N6thrust23THRUST_200600_302600_NS11hip_rocprim26transform_input_iterator_tIS6_NSA_6detail15normal_iteratorINSA_10device_ptrIfEEEE22summary_stats_unary_opIfEEEPS6_S6_23summary_stats_binary_opIfEEE10hipError_tPvRmT1_T2_T3_mT4_P12ihipStream_tbEUlT_E0_NS1_11comp_targetILNS1_3genE9ELNS1_11target_archE1100ELNS1_3gpuE3ELNS1_3repE0EEENS1_30default_config_static_selectorELNS0_4arch9wavefront6targetE0EEEvSR_.uses_flat_scratch, 0
	.set _ZN7rocprim17ROCPRIM_400000_NS6detail17trampoline_kernelINS0_14default_configENS1_22reduce_config_selectorI18summary_stats_dataIfEEEZNS1_11reduce_implILb1ES3_N6thrust23THRUST_200600_302600_NS11hip_rocprim26transform_input_iterator_tIS6_NSA_6detail15normal_iteratorINSA_10device_ptrIfEEEE22summary_stats_unary_opIfEEEPS6_S6_23summary_stats_binary_opIfEEE10hipError_tPvRmT1_T2_T3_mT4_P12ihipStream_tbEUlT_E0_NS1_11comp_targetILNS1_3genE9ELNS1_11target_archE1100ELNS1_3gpuE3ELNS1_3repE0EEENS1_30default_config_static_selectorELNS0_4arch9wavefront6targetE0EEEvSR_.has_dyn_sized_stack, 0
	.set _ZN7rocprim17ROCPRIM_400000_NS6detail17trampoline_kernelINS0_14default_configENS1_22reduce_config_selectorI18summary_stats_dataIfEEEZNS1_11reduce_implILb1ES3_N6thrust23THRUST_200600_302600_NS11hip_rocprim26transform_input_iterator_tIS6_NSA_6detail15normal_iteratorINSA_10device_ptrIfEEEE22summary_stats_unary_opIfEEEPS6_S6_23summary_stats_binary_opIfEEE10hipError_tPvRmT1_T2_T3_mT4_P12ihipStream_tbEUlT_E0_NS1_11comp_targetILNS1_3genE9ELNS1_11target_archE1100ELNS1_3gpuE3ELNS1_3repE0EEENS1_30default_config_static_selectorELNS0_4arch9wavefront6targetE0EEEvSR_.has_recursion, 0
	.set _ZN7rocprim17ROCPRIM_400000_NS6detail17trampoline_kernelINS0_14default_configENS1_22reduce_config_selectorI18summary_stats_dataIfEEEZNS1_11reduce_implILb1ES3_N6thrust23THRUST_200600_302600_NS11hip_rocprim26transform_input_iterator_tIS6_NSA_6detail15normal_iteratorINSA_10device_ptrIfEEEE22summary_stats_unary_opIfEEEPS6_S6_23summary_stats_binary_opIfEEE10hipError_tPvRmT1_T2_T3_mT4_P12ihipStream_tbEUlT_E0_NS1_11comp_targetILNS1_3genE9ELNS1_11target_archE1100ELNS1_3gpuE3ELNS1_3repE0EEENS1_30default_config_static_selectorELNS0_4arch9wavefront6targetE0EEEvSR_.has_indirect_call, 0
	.section	.AMDGPU.csdata,"",@progbits
; Kernel info:
; codeLenInByte = 0
; TotalNumSgprs: 0
; NumVgprs: 0
; ScratchSize: 0
; MemoryBound: 0
; FloatMode: 240
; IeeeMode: 1
; LDSByteSize: 0 bytes/workgroup (compile time only)
; SGPRBlocks: 0
; VGPRBlocks: 0
; NumSGPRsForWavesPerEU: 1
; NumVGPRsForWavesPerEU: 1
; Occupancy: 16
; WaveLimiterHint : 0
; COMPUTE_PGM_RSRC2:SCRATCH_EN: 0
; COMPUTE_PGM_RSRC2:USER_SGPR: 6
; COMPUTE_PGM_RSRC2:TRAP_HANDLER: 0
; COMPUTE_PGM_RSRC2:TGID_X_EN: 1
; COMPUTE_PGM_RSRC2:TGID_Y_EN: 0
; COMPUTE_PGM_RSRC2:TGID_Z_EN: 0
; COMPUTE_PGM_RSRC2:TIDIG_COMP_CNT: 0
	.section	.text._ZN7rocprim17ROCPRIM_400000_NS6detail17trampoline_kernelINS0_14default_configENS1_22reduce_config_selectorI18summary_stats_dataIfEEEZNS1_11reduce_implILb1ES3_N6thrust23THRUST_200600_302600_NS11hip_rocprim26transform_input_iterator_tIS6_NSA_6detail15normal_iteratorINSA_10device_ptrIfEEEE22summary_stats_unary_opIfEEEPS6_S6_23summary_stats_binary_opIfEEE10hipError_tPvRmT1_T2_T3_mT4_P12ihipStream_tbEUlT_E0_NS1_11comp_targetILNS1_3genE8ELNS1_11target_archE1030ELNS1_3gpuE2ELNS1_3repE0EEENS1_30default_config_static_selectorELNS0_4arch9wavefront6targetE0EEEvSR_,"axG",@progbits,_ZN7rocprim17ROCPRIM_400000_NS6detail17trampoline_kernelINS0_14default_configENS1_22reduce_config_selectorI18summary_stats_dataIfEEEZNS1_11reduce_implILb1ES3_N6thrust23THRUST_200600_302600_NS11hip_rocprim26transform_input_iterator_tIS6_NSA_6detail15normal_iteratorINSA_10device_ptrIfEEEE22summary_stats_unary_opIfEEEPS6_S6_23summary_stats_binary_opIfEEE10hipError_tPvRmT1_T2_T3_mT4_P12ihipStream_tbEUlT_E0_NS1_11comp_targetILNS1_3genE8ELNS1_11target_archE1030ELNS1_3gpuE2ELNS1_3repE0EEENS1_30default_config_static_selectorELNS0_4arch9wavefront6targetE0EEEvSR_,comdat
	.protected	_ZN7rocprim17ROCPRIM_400000_NS6detail17trampoline_kernelINS0_14default_configENS1_22reduce_config_selectorI18summary_stats_dataIfEEEZNS1_11reduce_implILb1ES3_N6thrust23THRUST_200600_302600_NS11hip_rocprim26transform_input_iterator_tIS6_NSA_6detail15normal_iteratorINSA_10device_ptrIfEEEE22summary_stats_unary_opIfEEEPS6_S6_23summary_stats_binary_opIfEEE10hipError_tPvRmT1_T2_T3_mT4_P12ihipStream_tbEUlT_E0_NS1_11comp_targetILNS1_3genE8ELNS1_11target_archE1030ELNS1_3gpuE2ELNS1_3repE0EEENS1_30default_config_static_selectorELNS0_4arch9wavefront6targetE0EEEvSR_ ; -- Begin function _ZN7rocprim17ROCPRIM_400000_NS6detail17trampoline_kernelINS0_14default_configENS1_22reduce_config_selectorI18summary_stats_dataIfEEEZNS1_11reduce_implILb1ES3_N6thrust23THRUST_200600_302600_NS11hip_rocprim26transform_input_iterator_tIS6_NSA_6detail15normal_iteratorINSA_10device_ptrIfEEEE22summary_stats_unary_opIfEEEPS6_S6_23summary_stats_binary_opIfEEE10hipError_tPvRmT1_T2_T3_mT4_P12ihipStream_tbEUlT_E0_NS1_11comp_targetILNS1_3genE8ELNS1_11target_archE1030ELNS1_3gpuE2ELNS1_3repE0EEENS1_30default_config_static_selectorELNS0_4arch9wavefront6targetE0EEEvSR_
	.globl	_ZN7rocprim17ROCPRIM_400000_NS6detail17trampoline_kernelINS0_14default_configENS1_22reduce_config_selectorI18summary_stats_dataIfEEEZNS1_11reduce_implILb1ES3_N6thrust23THRUST_200600_302600_NS11hip_rocprim26transform_input_iterator_tIS6_NSA_6detail15normal_iteratorINSA_10device_ptrIfEEEE22summary_stats_unary_opIfEEEPS6_S6_23summary_stats_binary_opIfEEE10hipError_tPvRmT1_T2_T3_mT4_P12ihipStream_tbEUlT_E0_NS1_11comp_targetILNS1_3genE8ELNS1_11target_archE1030ELNS1_3gpuE2ELNS1_3repE0EEENS1_30default_config_static_selectorELNS0_4arch9wavefront6targetE0EEEvSR_
	.p2align	8
	.type	_ZN7rocprim17ROCPRIM_400000_NS6detail17trampoline_kernelINS0_14default_configENS1_22reduce_config_selectorI18summary_stats_dataIfEEEZNS1_11reduce_implILb1ES3_N6thrust23THRUST_200600_302600_NS11hip_rocprim26transform_input_iterator_tIS6_NSA_6detail15normal_iteratorINSA_10device_ptrIfEEEE22summary_stats_unary_opIfEEEPS6_S6_23summary_stats_binary_opIfEEE10hipError_tPvRmT1_T2_T3_mT4_P12ihipStream_tbEUlT_E0_NS1_11comp_targetILNS1_3genE8ELNS1_11target_archE1030ELNS1_3gpuE2ELNS1_3repE0EEENS1_30default_config_static_selectorELNS0_4arch9wavefront6targetE0EEEvSR_,@function
_ZN7rocprim17ROCPRIM_400000_NS6detail17trampoline_kernelINS0_14default_configENS1_22reduce_config_selectorI18summary_stats_dataIfEEEZNS1_11reduce_implILb1ES3_N6thrust23THRUST_200600_302600_NS11hip_rocprim26transform_input_iterator_tIS6_NSA_6detail15normal_iteratorINSA_10device_ptrIfEEEE22summary_stats_unary_opIfEEEPS6_S6_23summary_stats_binary_opIfEEE10hipError_tPvRmT1_T2_T3_mT4_P12ihipStream_tbEUlT_E0_NS1_11comp_targetILNS1_3genE8ELNS1_11target_archE1030ELNS1_3gpuE2ELNS1_3repE0EEENS1_30default_config_static_selectorELNS0_4arch9wavefront6targetE0EEEvSR_: ; @_ZN7rocprim17ROCPRIM_400000_NS6detail17trampoline_kernelINS0_14default_configENS1_22reduce_config_selectorI18summary_stats_dataIfEEEZNS1_11reduce_implILb1ES3_N6thrust23THRUST_200600_302600_NS11hip_rocprim26transform_input_iterator_tIS6_NSA_6detail15normal_iteratorINSA_10device_ptrIfEEEE22summary_stats_unary_opIfEEEPS6_S6_23summary_stats_binary_opIfEEE10hipError_tPvRmT1_T2_T3_mT4_P12ihipStream_tbEUlT_E0_NS1_11comp_targetILNS1_3genE8ELNS1_11target_archE1030ELNS1_3gpuE2ELNS1_3repE0EEENS1_30default_config_static_selectorELNS0_4arch9wavefront6targetE0EEEvSR_
; %bb.0:
	s_clause 0x3
	s_load_dwordx8 s[8:15], s[4:5], 0x10
	s_load_dwordx2 s[0:1], s[4:5], 0x0
	s_load_dwordx2 s[24:25], s[4:5], 0x30
	s_load_dwordx8 s[16:23], s[4:5], 0x38
	s_mov_b32 s27, 0
	v_lshlrev_b32_e32 v2, 2, v0
	v_mbcnt_lo_u32_b32 v1, -1, 0
	s_mov_b32 s7, s27
	s_waitcnt lgkmcnt(0)
	s_lshl_b64 s[2:3], s[8:9], 2
	s_add_u32 s4, s0, s2
	s_addc_u32 s5, s1, s3
	s_lshl_b32 s26, s6, 9
	s_lshr_b64 s[2:3], s[10:11], 9
	s_lshl_b64 s[0:1], s[26:27], 2
	s_add_u32 s8, s4, s0
	s_addc_u32 s9, s5, s1
	s_cmp_lg_u64 s[2:3], s[6:7]
	s_cbranch_scc0 .LBB26_6
; %bb.1:
	v_add_co_u32 v3, s0, s8, v2
	v_add_co_ci_u32_e64 v4, null, s9, 0, s0
	s_clause 0x1
	flat_load_dword v17, v[3:4]
	flat_load_dword v19, v[3:4] offset:1024
	v_mov_b32_e32 v3, 2.0
	v_mov_b32_dpp v15, v3 quad_perm:[1,0,3,2] row_mask:0xf bank_mask:0xf
	v_mov_b32_e32 v3, 0
	v_mul_f32_e32 v28, v15, v15
	v_add_f32_e32 v4, 2.0, v15
	v_add_f32_e32 v30, -2.0, v15
	v_fma_f32 v6, -2.0, v15, v28
	v_mul_f32_e32 v10, v4, v4
	v_mov_b32_dpp v8, v4 quad_perm:[2,3,0,1] row_mask:0xf bank_mask:0xf
	v_add_f32_e32 v31, 4.0, v6
	v_mul_f32_e32 v25, v4, v10
	v_add_f32_e32 v5, v4, v8
	v_mul_f32_e32 v22, v8, v8
	v_sub_f32_e32 v21, v8, v4
	v_mul_f32_e32 v14, v5, v5
	v_fma_f32 v29, -v4, v8, v22
	v_mov_b32_dpp v9, v5 row_ror:4 row_mask:0xf bank_mask:0xf
	v_mul_f32_e32 v27, v5, v14
	v_fmac_f32_e32 v29, v4, v4
	v_add_f32_e32 v7, v5, v9
	v_mul_f32_e32 v20, v9, v9
	v_sub_f32_e32 v26, v9, v5
	v_mul_f32_e32 v16, v7, v7
	v_fma_f32 v23, -v5, v9, v20
	v_mov_b32_dpp v13, v7 row_ror:8 row_mask:0xf bank_mask:0xf
	v_mul_f32_e32 v18, v7, v16
	v_fmac_f32_e32 v23, v5, v5
	v_add_f32_e32 v6, v7, v13
	v_mul_f32_e32 v24, v13, v13
	v_mul_f32_e32 v12, v6, v6
	ds_swizzle_b32 v11, v6 offset:swizzle(BROADCAST,32,15)
	v_mul_f32_e32 v61, v6, v12
	s_waitcnt lgkmcnt(0)
	v_sub_f32_e32 v62, v11, v6
	s_waitcnt vmcnt(0)
	v_cmp_lt_f32_e32 vcc_lo, v19, v17
	v_sub_f32_e32 v32, v19, v17
	v_cndmask_b32_e32 v33, v17, v19, vcc_lo
	v_cmp_lt_f32_e32 vcc_lo, v17, v19
	v_mul_f32_e32 v34, v32, v32
	v_mul_f32_e32 v35, 0x40400000, v32
	v_mul_f32_e32 v36, 4.0, v32
	v_mov_b32_dpp v37, v33 quad_perm:[1,0,3,2] row_mask:0xf bank_mask:0xf
	v_cndmask_b32_e32 v19, v17, v19, vcc_lo
	v_mul_f32_e32 v41, 0x40c00000, v34
	v_fmac_f32_e32 v17, 0.5, v32
	v_mul_f32_e32 v39, v32, v34
	v_cmp_lt_f32_e32 vcc_lo, v33, v37
	v_mov_b32_dpp v38, v19 quad_perm:[1,0,3,2] row_mask:0xf bank_mask:0xf
	v_mul_f32_e32 v40, 0.5, v34
	v_mov_b32_dpp v42, v17 quad_perm:[1,0,3,2] row_mask:0xf bank_mask:0xf
	v_mul_f32_e32 v32, v32, v39
	v_cndmask_b32_e32 v33, v37, v33, vcc_lo
	v_cmp_gt_f32_e32 vcc_lo, v19, v38
	v_mul_f32_e32 v37, 0, v39
	v_mov_b32_dpp v39, v40 quad_perm:[1,0,3,2] row_mask:0xf bank_mask:0xf
	v_sub_f32_e32 v17, v17, v42
	v_mul_f32_e32 v35, 0, v35
	v_cndmask_b32_e32 v19, v38, v19, vcc_lo
	v_mul_f32_e32 v38, 0, v41
	v_mov_b32_dpp v41, v33 quad_perm:[2,3,0,1] row_mask:0xf bank_mask:0xf
	v_fma_f32 v34, 0.5, v34, v39
	v_add_f32_e32 v47, v39, v39
	v_mov_b32_dpp v43, v19 quad_perm:[2,3,0,1] row_mask:0xf bank_mask:0xf
	v_mul_f32_e32 v39, 4.0, v39
	v_cmp_lt_f32_e32 vcc_lo, v33, v41
	v_fma_f32 v37, 0x3e800000, v37, 0
	v_fmamk_f32 v32, v32, 0x3e000000, v3
	v_mul_f32_e32 v44, v17, v17
	v_add_f32_e32 v45, v17, v17
	v_cndmask_b32_e32 v33, v41, v33, vcc_lo
	v_cmp_gt_f32_e32 vcc_lo, v19, v43
	v_fmac_f32_e32 v39, v40, v28
	v_fmac_f32_e32 v37, 0.5, v35
	v_fmac_f32_e32 v32, 0x3e800000, v38
	v_mov_b32_dpp v28, v33 row_ror:4 row_mask:0xf bank_mask:0xf
	v_cndmask_b32_e32 v19, v43, v19, vcc_lo
	v_mul_f32_e32 v35, v17, v44
	v_div_scale_f32 v38, null, v4, v4, v45
	v_mul_f32_e32 v43, v44, v15
	v_fma_f32 v47, v40, v15, -v47
	v_mov_b32_dpp v40, v19 row_ror:4 row_mask:0xf bank_mask:0xf
	v_cmp_lt_f32_e64 s0, v33, v28
	v_mul_f32_e32 v36, 0, v36
	v_mul_f32_e32 v46, 0x40400000, v17
	v_mul_f32_e32 v48, 4.0, v17
	v_mul_f32_e32 v17, v17, v35
	v_rcp_f32_e32 v49, v38
	v_add_f32_e32 v43, v43, v43
	v_mul_f32_e32 v35, v35, v15
	v_cndmask_b32_e64 v28, v28, v33, s0
	v_cmp_gt_f32_e64 s0, v19, v40
	v_fmac_f32_e32 v32, 0.5, v36
	v_mov_b32_dpp v36, v37 quad_perm:[1,0,3,2] row_mask:0xf bank_mask:0xf
	v_add_f32_e32 v35, v35, v35
	v_mov_b32_dpp v54, v28 row_ror:8 row_mask:0xf bank_mask:0xf
	v_cndmask_b32_e64 v33, v40, v19, s0
	v_div_scale_f32 v40, null, v4, v4, v43
	v_mul_f32_e32 v46, v46, v47
	v_mov_b32_dpp v19, v32 quad_perm:[1,0,3,2] row_mask:0xf bank_mask:0xf
	v_add_f32_e32 v47, v37, v36
	v_mul_f32_e32 v17, v17, v15
	v_add_f32_e32 v36, v36, v36
	v_mov_b32_dpp v55, v33 row_ror:8 row_mask:0xf bank_mask:0xf
	v_fma_f32 v56, -v38, v49, 1.0
	v_rcp_f32_e32 v57, v40
	v_mul_f32_e32 v35, v30, v35
	v_cmp_lt_f32_e64 s3, v28, v54
	v_div_scale_f32 v41, vcc_lo, v45, v4, v45
	v_mul_f32_e32 v44, 0x40c00000, v44
	v_add_f32_e32 v32, v32, v19
	v_add_f32_e32 v17, v17, v17
	v_fma_f32 v30, v37, v15, -v36
	v_cndmask_b32_e64 v19, v54, v28, s3
	v_cmp_gt_f32_e64 s3, v33, v55
	v_fmac_f32_e32 v49, v56, v49
	v_div_scale_f32 v28, null, v10, v10, v35
	v_mul_f32_e32 v39, v44, v39
	v_div_scale_f32 v50, null, v4, v4, v46
	v_cndmask_b32_e64 v15, v55, v33, s3
	v_mul_f32_e32 v31, v31, v17
	v_mul_f32_e32 v33, v48, v30
	;; [unrolled: 1-line block ×3, first 2 shown]
	v_fma_f32 v30, -v40, v57, 1.0
	v_rcp_f32_e32 v36, v28
	v_div_scale_f32 v44, s0, v43, v4, v43
	v_div_scale_f32 v52, null, v10, v10, v39
	v_rcp_f32_e32 v58, v50
	v_fma_f32 v56, -v38, v17, v41
	v_fmac_f32_e32 v57, v30, v57
	v_rcp_f32_e32 v59, v52
	v_div_scale_f32 v48, null, v25, v25, v31
	v_fmac_f32_e32 v17, v56, v49
	v_fma_f32 v30, -v28, v36, 1.0
	v_mul_f32_e32 v56, v44, v57
	v_div_scale_f32 v51, s1, v46, v4, v46
	v_fma_f32 v37, -v50, v58, 1.0
	v_fmac_f32_e32 v36, v30, v36
	v_fma_f32 v30, -v40, v56, v44
	v_fma_f32 v54, -v52, v59, 1.0
	v_fma_f32 v38, -v38, v17, v41
	v_fmac_f32_e32 v58, v37, v58
	v_rcp_f32_e32 v37, v48
	v_fmac_f32_e32 v56, v30, v57
	v_div_scale_f32 v30, s3, v35, v10, v35
	v_div_scale_f32 v53, s2, v39, v10, v39
	v_div_scale_f32 v55, null, v4, v4, v33
	v_fmac_f32_e32 v59, v54, v59
	v_mul_f32_e32 v60, v51, v58
	v_fma_f32 v40, -v40, v56, v44
	v_mul_f32_e32 v44, v30, v36
	v_div_fmas_f32 v38, v38, v49, v17
	s_mov_b32 vcc_lo, s0
	v_rcp_f32_e32 v54, v55
	v_mul_f32_e32 v41, v53, v59
	v_fma_f32 v17, -v50, v60, v51
	v_fma_f32 v49, -v48, v37, 1.0
	v_div_fmas_f32 v40, v40, v57, v56
	v_fma_f32 v56, -v28, v44, v30
	v_div_fixup_f32 v38, v38, v4, v45
	v_fmac_f32_e32 v60, v17, v58
	v_fma_f32 v17, -v52, v41, v53
	v_fmac_f32_e32 v37, v49, v37
	v_fmac_f32_e32 v44, v56, v36
	v_div_scale_f32 v45, s0, v31, v25, v31
	v_fmac_f32_e32 v41, v17, v59
	v_fma_f32 v17, -v55, v54, 1.0
	v_fma_f32 v28, -v28, v44, v30
	v_fma_f32 v50, -v50, v60, v51
	v_mul_f32_e32 v51, v45, v37
	s_mov_b32 vcc_lo, s3
	v_fmac_f32_e32 v54, v17, v54
	v_div_scale_f32 v56, s4, v33, v4, v33
	v_div_fmas_f32 v36, v28, v36, v44
	v_fma_f32 v28, -v48, v51, v45
	v_add_f32_e32 v38, v38, v42
	v_mul_f32_e32 v44, v56, v54
	v_div_fixup_f32 v40, v40, v4, v43
	s_mov_b32 vcc_lo, s1
	v_fmac_f32_e32 v51, v28, v37
	v_mov_b32_dpp v43, v38 quad_perm:[2,3,0,1] row_mask:0xf bank_mask:0xf
	v_fma_f32 v30, -v55, v44, v56
	v_div_fmas_f32 v50, v50, v58, v60
	s_mov_b32 vcc_lo, s0
	v_fma_f32 v45, -v48, v51, v45
	v_sub_f32_e32 v38, v38, v43
	v_fma_f32 v52, -v52, v41, v53
	v_fmac_f32_e32 v44, v30, v54
	v_add_f32_e32 v34, v34, v40
	v_div_fixup_f32 v35, v36, v10, v35
	v_div_fmas_f32 v36, v45, v37, v51
	v_mul_f32_e32 v45, v38, v38
	v_mul_f32_e32 v51, v4, v38
	s_mov_b32 vcc_lo, s2
	v_fma_f32 v48, -v55, v44, v56
	v_mov_b32_dpp v37, v34 quad_perm:[2,3,0,1] row_mask:0xf bank_mask:0xf
	v_div_fixup_f32 v46, v50, v4, v46
	v_div_fmas_f32 v41, v52, v59, v41
	v_div_fixup_f32 v25, v36, v25, v31
	v_mul_f32_e32 v31, v38, v45
	v_div_scale_f32 v36, null, v5, v5, v51
	v_mul_f32_e32 v50, v45, v8
	s_mov_b32 vcc_lo, s4
	v_mul_f32_e32 v53, 0x40400000, v38
	v_mul_f32_e32 v55, 4.0, v38
	v_div_fmas_f32 v44, v48, v54, v44
	v_add_f32_e32 v35, v47, v35
	v_add_f32_e32 v48, v34, v37
	v_mul_f32_e32 v52, v4, v37
	v_mul_f32_e32 v37, v10, v37
	v_div_fixup_f32 v10, v41, v10, v39
	v_add_f32_e32 v25, v32, v25
	v_mul_f32_e32 v32, v38, v31
	v_rcp_f32_e32 v38, v36
	v_mul_f32_e32 v39, v4, v50
	v_div_fixup_f32 v33, v44, v4, v33
	v_add_f32_e32 v35, v46, v35
	v_add_f32_e32 v10, v10, v25
	v_mul_f32_e32 v45, 0x40c00000, v45
	v_div_scale_f32 v25, null, v5, v5, v39
	v_mul_f32_e32 v31, v31, v8
	v_fma_f32 v41, v34, v8, -v52
	v_fmac_f32_e32 v37, v22, v34
	v_mov_b32_dpp v22, v35 quad_perm:[2,3,0,1] row_mask:0xf bank_mask:0xf
	v_mul_f32_e32 v32, v32, v8
	v_add_f32_e32 v10, v33, v10
	v_fma_f32 v33, -v36, v38, 1.0
	v_rcp_f32_e32 v44, v25
	v_div_scale_f32 v47, vcc_lo, v51, v5, v51
	v_mul_f32_e32 v31, v4, v31
	v_mul_f32_e32 v41, v53, v41
	;; [unrolled: 1-line block ×5, first 2 shown]
	v_fmac_f32_e32 v38, v33, v38
	v_add_f32_e32 v45, v35, v22
	v_mul_f32_e32 v21, v21, v31
	v_div_scale_f32 v31, null, v5, v5, v41
	v_div_scale_f32 v50, null, v14, v14, v37
	v_fma_f32 v4, v35, v8, -v4
	v_mul_f32_e32 v8, v47, v38
	v_fma_f32 v35, -v25, v44, 1.0
	v_div_scale_f32 v34, s0, v39, v5, v39
	v_rcp_f32_e32 v53, v31
	v_mul_f32_e32 v29, v29, v32
	v_rcp_f32_e32 v32, v50
	v_mul_f32_e32 v4, v55, v4
	v_fma_f32 v55, -v36, v8, v47
	v_fmac_f32_e32 v44, v35, v44
	v_mov_b32_dpp v22, v10 quad_perm:[2,3,0,1] row_mask:0xf bank_mask:0xf
	v_div_scale_f32 v33, null, v14, v14, v21
	v_fmac_f32_e32 v8, v55, v38
	v_mul_f32_e32 v55, v34, v44
	v_add_f32_e32 v10, v10, v22
	v_rcp_f32_e32 v54, v33
	v_div_scale_f32 v22, null, v27, v27, v29
	v_fma_f32 v35, -v31, v53, 1.0
	v_fma_f32 v58, -v50, v32, 1.0
	v_fma_f32 v36, -v36, v8, v47
	v_fma_f32 v47, -v25, v55, v34
	v_div_scale_f32 v46, s1, v41, v5, v41
	v_rcp_f32_e32 v56, v22
	v_fmac_f32_e32 v53, v35, v53
	v_fmac_f32_e32 v32, v58, v32
	v_div_scale_f32 v58, null, v5, v5, v4
	v_fmac_f32_e32 v55, v47, v44
	v_div_scale_f32 v52, s2, v37, v14, v37
	v_fma_f32 v35, -v33, v54, 1.0
	v_rcp_f32_e32 v47, v58
	v_div_fmas_f32 v8, v36, v38, v8
	v_mul_f32_e32 v36, v46, v53
	v_fma_f32 v25, -v25, v55, v34
	s_mov_b32 vcc_lo, s0
	v_fmac_f32_e32 v54, v35, v54
	v_div_scale_f32 v35, s3, v21, v14, v21
	v_fma_f32 v34, -v22, v56, 1.0
	v_mul_f32_e32 v38, v52, v32
	v_div_fmas_f32 v25, v25, v44, v55
	v_fma_f32 v55, -v31, v36, v46
	v_mul_f32_e32 v44, v35, v54
	v_fmac_f32_e32 v56, v34, v56
	v_fma_f32 v34, -v50, v38, v52
	v_div_fixup_f32 v8, v8, v5, v51
	v_fma_f32 v51, -v58, v47, 1.0
	v_fmac_f32_e32 v36, v55, v53
	v_div_scale_f32 v55, s0, v29, v27, v29
	v_fmac_f32_e32 v38, v34, v32
	v_fma_f32 v34, -v33, v44, v35
	v_fmac_f32_e32 v47, v51, v47
	v_mul_f32_e32 v51, v55, v56
	v_add_f32_e32 v8, v8, v43
	v_div_scale_f32 v43, s4, v4, v5, v4
	v_fmac_f32_e32 v44, v34, v54
	v_fma_f32 v31, -v31, v36, v46
	v_fma_f32 v46, -v22, v51, v55
	;; [unrolled: 1-line block ×3, first 2 shown]
	v_mul_f32_e32 v52, v43, v47
	v_fma_f32 v33, -v33, v44, v35
	s_mov_b32 vcc_lo, s3
	v_fmac_f32_e32 v51, v46, v56
	v_mov_b32_dpp v46, v8 row_ror:4 row_mask:0xf bank_mask:0xf
	v_fma_f32 v35, -v58, v52, v43
	v_div_fixup_f32 v25, v25, v5, v39
	v_div_fmas_f32 v33, v33, v54, v44
	v_fma_f32 v22, -v22, v51, v55
	v_sub_f32_e32 v8, v8, v46
	v_fmac_f32_e32 v52, v35, v47
	s_mov_b32 vcc_lo, s1
	v_add_f32_e32 v25, v48, v25
	v_div_fmas_f32 v31, v31, v53, v36
	s_mov_b32 vcc_lo, s0
	v_div_fixup_f32 v21, v33, v14, v21
	v_div_fmas_f32 v22, v22, v56, v51
	v_fma_f32 v33, -v58, v52, v43
	v_mul_f32_e32 v43, v5, v8
	s_mov_b32 vcc_lo, s2
	v_mov_b32_dpp v35, v25 row_ror:4 row_mask:0xf bank_mask:0xf
	v_div_fmas_f32 v32, v50, v32, v38
	s_mov_b32 vcc_lo, s4
	v_mul_f32_e32 v36, v8, v8
	v_div_fixup_f32 v22, v22, v27, v29
	v_div_fmas_f32 v27, v33, v47, v52
	v_div_scale_f32 v33, null, v7, v7, v43
	v_div_fixup_f32 v31, v31, v5, v41
	v_add_f32_e32 v21, v45, v21
	v_mul_f32_e32 v29, v8, v36
	v_add_f32_e32 v41, v25, v35
	v_mul_f32_e32 v45, v36, v9
	v_mul_f32_e32 v47, v5, v35
	;; [unrolled: 1-line block ×3, first 2 shown]
	v_div_fixup_f32 v14, v32, v14, v37
	v_add_f32_e32 v10, v10, v22
	v_rcp_f32_e32 v22, v33
	v_mul_f32_e32 v44, 0x40400000, v8
	v_mul_f32_e32 v48, 4.0, v8
	v_add_f32_e32 v21, v31, v21
	v_div_fixup_f32 v4, v27, v5, v4
	v_mul_f32_e32 v8, v8, v29
	v_mul_f32_e32 v27, v5, v45
	v_mul_f32_e32 v29, v29, v9
	v_fma_f32 v31, v25, v9, -v47
	v_add_f32_e32 v10, v14, v10
	v_mul_f32_e32 v36, 0x40c00000, v36
	v_fmac_f32_e32 v35, v20, v25
	v_mov_b32_dpp v14, v21 row_ror:4 row_mask:0xf bank_mask:0xf
	v_div_scale_f32 v20, null, v7, v7, v27
	v_mul_f32_e32 v29, v5, v29
	v_mul_f32_e32 v31, v44, v31
	;; [unrolled: 1-line block ×3, first 2 shown]
	v_add_f32_e32 v4, v4, v10
	v_fma_f32 v10, -v33, v22, 1.0
	v_div_scale_f32 v38, vcc_lo, v43, v7, v43
	v_mul_f32_e32 v32, v36, v35
	v_rcp_f32_e32 v35, v20
	v_mul_f32_e32 v26, v26, v29
	v_div_scale_f32 v29, null, v7, v7, v31
	v_mul_f32_e32 v8, v5, v8
	v_mul_f32_e32 v5, v5, v14
	v_fmac_f32_e32 v22, v10, v22
	v_add_f32_e32 v36, v21, v14
	v_div_scale_f32 v44, null, v16, v16, v32
	v_mov_b32_dpp v14, v4 row_ror:4 row_mask:0xf bank_mask:0xf
	v_div_scale_f32 v10, null, v16, v16, v26
	v_rcp_f32_e32 v50, v29
	v_mul_f32_e32 v8, v23, v8
	v_fma_f32 v5, v21, v9, -v5
	v_mul_f32_e32 v9, v38, v22
	v_rcp_f32_e32 v23, v44
	v_fma_f32 v21, -v20, v35, 1.0
	v_rcp_f32_e32 v51, v10
	v_add_f32_e32 v4, v4, v14
	v_div_scale_f32 v14, null, v18, v18, v8
	v_mul_f32_e32 v5, v48, v5
	v_fma_f32 v48, -v33, v9, v38
	v_div_scale_f32 v25, s0, v27, v7, v27
	v_fmac_f32_e32 v35, v21, v35
	v_fma_f32 v21, -v29, v50, 1.0
	v_rcp_f32_e32 v53, v14
	v_div_scale_f32 v55, null, v7, v7, v5
	v_fmac_f32_e32 v9, v48, v22
	v_div_scale_f32 v37, s1, v31, v7, v31
	v_fma_f32 v54, -v44, v23, 1.0
	v_mul_f32_e32 v48, v25, v35
	v_fma_f32 v58, -v10, v51, 1.0
	v_fmac_f32_e32 v50, v21, v50
	v_rcp_f32_e32 v21, v55
	v_fma_f32 v33, -v33, v9, v38
	v_div_scale_f32 v47, s3, v26, v16, v26
	v_fmac_f32_e32 v23, v54, v23
	v_fma_f32 v38, -v20, v48, v25
	v_fmac_f32_e32 v51, v58, v51
	v_mul_f32_e32 v54, v37, v50
	v_fma_f32 v58, -v14, v53, 1.0
	v_div_fmas_f32 v9, v33, v22, v9
	v_div_scale_f32 v52, s4, v8, v18, v8
	v_fmac_f32_e32 v48, v38, v35
	v_mul_f32_e32 v33, v47, v51
	v_fma_f32 v38, -v29, v54, v37
	v_fmac_f32_e32 v53, v58, v53
	v_div_fixup_f32 v9, v9, v7, v43
	v_fma_f32 v43, -v55, v21, 1.0
	v_div_scale_f32 v45, s2, v32, v16, v32
	v_div_scale_f32 v56, s5, v5, v7, v5
	v_fma_f32 v20, -v20, v48, v25
	v_fma_f32 v25, -v10, v33, v47
	v_fmac_f32_e32 v54, v38, v50
	v_mul_f32_e32 v38, v52, v53
	v_fmac_f32_e32 v21, v43, v21
	v_mul_f32_e32 v22, v45, v23
	s_mov_b32 vcc_lo, s0
	v_add_f32_e32 v9, v9, v46
	v_div_fmas_f32 v20, v20, v35, v48
	v_fmac_f32_e32 v33, v25, v51
	v_fma_f32 v25, -v29, v54, v37
	v_fma_f32 v29, -v14, v38, v52
	v_mul_f32_e32 v35, v56, v21
	v_fma_f32 v58, -v44, v22, v45
	v_div_fixup_f32 v20, v20, v7, v27
	v_fma_f32 v10, -v10, v33, v47
	v_fmac_f32_e32 v38, v29, v53
	v_fma_f32 v27, -v55, v35, v56
	v_mov_b32_dpp v29, v9 row_ror:8 row_mask:0xf bank_mask:0xf
	v_fmac_f32_e32 v22, v58, v23
	s_mov_b32 vcc_lo, s3
	v_add_f32_e32 v20, v41, v20
	v_div_fmas_f32 v10, v10, v51, v33
	v_fma_f32 v14, -v14, v38, v52
	v_fmac_f32_e32 v35, v27, v21
	v_sub_f32_e32 v9, v9, v29
	s_mov_b32 vcc_lo, s1
	v_fma_f32 v37, -v44, v22, v45
	v_div_fmas_f32 v25, v25, v50, v54
	s_mov_b32 vcc_lo, s4
	v_div_fixup_f32 v10, v10, v16, v26
	v_div_fmas_f32 v14, v14, v53, v38
	v_fma_f32 v26, -v55, v35, v56
	v_mov_b32_dpp v27, v20 row_ror:8 row_mask:0xf bank_mask:0xf
	v_mul_f32_e32 v33, v9, v9
	v_mul_f32_e32 v38, v7, v9
	s_mov_b32 vcc_lo, s2
	v_div_fixup_f32 v25, v25, v7, v31
	v_div_fmas_f32 v22, v37, v23, v22
	s_mov_b32 vcc_lo, s5
	v_div_fixup_f32 v8, v14, v18, v8
	v_div_fmas_f32 v14, v26, v21, v35
	v_mul_f32_e32 v18, v9, v33
	v_div_scale_f32 v21, null, v6, v6, v38
	v_mul_f32_e32 v31, v33, v13
	v_mul_f32_e32 v35, v7, v27
	;; [unrolled: 1-line block ×3, first 2 shown]
	v_mul_f32_e32 v43, 4.0, v9
	v_add_f32_e32 v10, v36, v10
	v_add_f32_e32 v26, v20, v27
	v_mul_f32_e32 v27, v16, v27
	v_div_fixup_f32 v16, v22, v16, v32
	v_add_f32_e32 v4, v4, v8
	v_div_fixup_f32 v5, v14, v7, v5
	v_mul_f32_e32 v8, v9, v18
	v_rcp_f32_e32 v9, v21
	v_mul_f32_e32 v14, v7, v31
	v_mul_f32_e32 v18, v18, v13
	v_fma_f32 v22, v20, v13, -v35
	v_fma_f32 v49, -v7, v13, v24
	v_sub_f32_e32 v57, v13, v7
	v_mul_f32_e32 v33, 0x40c00000, v33
	v_add_f32_e32 v10, v25, v10
	v_fmac_f32_e32 v27, v24, v20
	v_add_f32_e32 v4, v16, v4
	v_div_scale_f32 v20, null, v6, v6, v14
	v_mul_f32_e32 v18, v7, v18
	v_mul_f32_e32 v22, v41, v22
	;; [unrolled: 1-line block ×3, first 2 shown]
	v_fmac_f32_e32 v49, v7, v7
	v_mov_b32_dpp v16, v10 row_ror:8 row_mask:0xf bank_mask:0xf
	v_mul_f32_e32 v25, v33, v27
	v_add_f32_e32 v4, v5, v4
	v_fma_f32 v5, -v21, v9, 1.0
	v_rcp_f32_e32 v27, v20
	v_mul_f32_e32 v18, v57, v18
	v_div_scale_f32 v32, null, v6, v6, v22
	v_mul_f32_e32 v8, v7, v8
	v_div_scale_f32 v23, vcc_lo, v38, v6, v38
	v_add_f32_e32 v31, v10, v16
	v_div_scale_f32 v35, null, v12, v12, v25
	v_mul_f32_e32 v7, v7, v16
	v_mov_b32_dpp v16, v4 row_ror:8 row_mask:0xf bank_mask:0xf
	v_fmac_f32_e32 v9, v5, v9
	v_div_scale_f32 v5, null, v12, v12, v18
	v_rcp_f32_e32 v41, v32
	v_mul_f32_e32 v8, v49, v8
	v_rcp_f32_e32 v44, v35
	v_fma_f32 v7, v10, v13, -v7
	v_mul_f32_e32 v10, v23, v9
	v_fma_f32 v13, -v20, v27, 1.0
	v_rcp_f32_e32 v45, v5
	v_add_f32_e32 v4, v4, v16
	v_div_scale_f32 v16, null, v61, v61, v8
	v_div_scale_f32 v24, s0, v14, v6, v14
	v_mul_f32_e32 v7, v43, v7
	v_fma_f32 v43, -v21, v10, v23
	v_fmac_f32_e32 v27, v13, v27
	v_fma_f32 v13, -v32, v41, 1.0
	v_rcp_f32_e32 v47, v16
	v_div_scale_f32 v33, s1, v22, v6, v22
	v_fma_f32 v48, -v35, v44, 1.0
	v_div_scale_f32 v49, null, v6, v6, v7
	v_fmac_f32_e32 v10, v43, v9
	v_mul_f32_e32 v43, v24, v27
	v_fma_f32 v51, -v5, v45, 1.0
	v_fmac_f32_e32 v41, v13, v41
	v_div_scale_f32 v37, s3, v18, v12, v18
	v_fmac_f32_e32 v44, v48, v44
	v_rcp_f32_e32 v13, v49
	v_fma_f32 v21, -v21, v10, v23
	v_fma_f32 v23, -v20, v43, v24
	v_fmac_f32_e32 v45, v51, v45
	v_mul_f32_e32 v48, v33, v41
	v_fma_f32 v51, -v16, v47, 1.0
	v_div_scale_f32 v46, s4, v8, v61, v8
	v_div_fmas_f32 v9, v21, v9, v10
	v_fmac_f32_e32 v43, v23, v27
	v_mul_f32_e32 v10, v37, v45
	v_fma_f32 v21, -v32, v48, v33
	v_fmac_f32_e32 v47, v51, v47
	v_div_scale_f32 v36, s2, v25, v12, v25
	v_fma_f32 v51, -v49, v13, 1.0
	v_div_fixup_f32 v9, v9, v6, v38
	v_fma_f32 v20, -v20, v43, v24
	v_fma_f32 v24, -v5, v10, v37
	v_fmac_f32_e32 v48, v21, v41
	v_mul_f32_e32 v21, v46, v47
	v_mul_f32_e32 v52, v36, v44
	v_div_scale_f32 v50, s5, v7, v6, v7
	v_fmac_f32_e32 v13, v51, v13
	v_add_f32_e32 v9, v9, v29
	v_fmac_f32_e32 v10, v24, v45
	v_fma_f32 v24, -v16, v21, v46
	v_fma_f32 v23, -v35, v52, v36
	s_mov_b32 vcc_lo, s0
	ds_swizzle_b32 v34, v19 offset:swizzle(BROADCAST,32,15)
	v_div_fmas_f32 v20, v20, v27, v43
	v_mul_f32_e32 v27, v50, v13
	v_fma_f32 v5, -v5, v10, v37
	v_fmac_f32_e32 v21, v24, v47
	ds_swizzle_b32 v24, v9 offset:swizzle(BROADCAST,32,15)
	v_fmac_f32_e32 v52, v23, v44
	v_fma_f32 v23, -v32, v48, v33
	s_mov_b32 vcc_lo, s3
	v_div_fixup_f32 v14, v20, v6, v14
	v_fma_f32 v20, -v49, v27, v50
	v_div_fmas_f32 v5, v5, v45, v10
	v_fma_f32 v10, -v16, v21, v46
	s_mov_b32 vcc_lo, s1
	v_fma_f32 v29, -v35, v52, v36
	v_div_fmas_f32 v16, v23, v41, v48
	s_mov_b32 vcc_lo, s4
	v_add_f32_e32 v14, v26, v14
	v_fmac_f32_e32 v27, v20, v13
	v_div_fmas_f32 v10, v10, v47, v21
	s_mov_b32 vcc_lo, s2
	v_div_fixup_f32 v5, v5, v12, v18
	ds_swizzle_b32 v20, v14 offset:swizzle(BROADCAST,32,15)
	v_fma_f32 v18, -v49, v27, v50
	v_div_fmas_f32 v21, v29, v44, v52
	v_div_fixup_f32 v8, v10, v61, v8
	s_mov_b32 vcc_lo, s5
	v_div_fixup_f32 v16, v16, v6, v22
	v_add_f32_e32 v5, v31, v5
	v_div_fmas_f32 v10, v18, v13, v27
	v_div_fixup_f32 v13, v21, v12, v25
	v_add_f32_e32 v4, v4, v8
	s_waitcnt lgkmcnt(1)
	v_sub_f32_e32 v8, v9, v24
	v_add_f32_e32 v17, v6, v11
	v_add_f32_e32 v5, v16, v5
	v_cmp_lt_f32_e32 vcc_lo, v19, v34
	v_div_fixup_f32 v7, v10, v6, v7
	v_add_f32_e32 v4, v13, v4
	v_mul_f32_e32 v10, v8, v8
	v_mul_f32_e32 v16, v6, v8
	v_cndmask_b32_e32 v9, v34, v19, vcc_lo
	v_mul_f32_e32 v42, v11, v11
	v_add_f32_e32 v4, v7, v4
	v_mul_f32_e32 v7, v8, v10
	v_div_scale_f32 v19, null, v17, v17, v16
	s_waitcnt lgkmcnt(0)
	v_mul_f32_e32 v12, v12, v20
	v_mul_f32_e32 v22, v10, v11
	;; [unrolled: 1-line block ×3, first 2 shown]
	v_rcp_f32_e32 v27, v19
	v_mul_f32_e32 v7, v7, v11
	v_mul_f32_e32 v23, v6, v20
	;; [unrolled: 1-line block ×3, first 2 shown]
	v_fmac_f32_e32 v12, v42, v14
	v_mul_f32_e32 v28, v17, v17
	v_mul_f32_e32 v7, v6, v7
	;; [unrolled: 1-line block ×4, first 2 shown]
	v_fma_f32 v23, v14, v11, -v23
	v_mul_f32_e32 v10, v10, v12
	v_fma_f32 v12, -v19, v27, 1.0
	v_mul_f32_e32 v7, v62, v7
	v_fma_f32 v40, -v6, v11, v42
	ds_swizzle_b32 v13, v5 offset:swizzle(BROADCAST,32,15)
	v_div_scale_f32 v21, vcc_lo, v16, v17, v16
	v_div_scale_f32 v29, null, v17, v17, v22
	v_mul_f32_e32 v18, v18, v23
	v_mul_f32_e32 v23, v26, v11
	v_fmac_f32_e32 v27, v12, v27
	v_div_scale_f32 v12, null, v28, v28, v7
	v_fmac_f32_e32 v40, v6, v6
	v_rcp_f32_e32 v26, v29
	v_mul_f32_e32 v34, v21, v27
	v_rcp_f32_e32 v36, v12
	v_mul_f32_e32 v23, v6, v23
	v_mul_f32_e32 v30, v17, v28
	v_div_scale_f32 v32, null, v17, v17, v18
	v_fma_f32 v38, -v19, v34, v21
	v_mul_f32_e32 v23, v40, v23
	v_div_scale_f32 v31, s0, v22, v17, v22
	v_fma_f32 v35, -v29, v26, 1.0
	v_fmac_f32_e32 v34, v38, v27
	v_fma_f32 v40, -v12, v36, 1.0
	v_div_scale_f32 v41, null, v30, v30, v23
	v_rcp_f32_e32 v37, v32
	v_fmac_f32_e32 v26, v35, v26
	v_fma_f32 v19, -v19, v34, v21
	v_fmac_f32_e32 v36, v40, v36
	v_rcp_f32_e32 v40, v41
	v_div_scale_f32 v43, null, v28, v28, v10
	s_waitcnt lgkmcnt(0)
	v_mul_f32_e32 v6, v6, v13
	v_mul_f32_e32 v38, v31, v26
	v_div_fmas_f32 v19, v19, v27, v34
	v_rcp_f32_e32 v27, v43
	v_mul_f32_e32 v8, 4.0, v8
	v_fma_f32 v6, v5, v11, -v6
	v_div_scale_f32 v35, s2, v7, v28, v7
	v_fma_f32 v42, -v32, v37, 1.0
	v_fma_f32 v21, -v29, v38, v31
	v_div_fixup_f32 v16, v19, v17, v16
	v_fma_f32 v19, -v41, v40, 1.0
	v_mul_f32_e32 v6, v8, v6
	v_div_scale_f32 v33, s1, v18, v17, v18
	v_fmac_f32_e32 v37, v42, v37
	v_fmac_f32_e32 v38, v21, v26
	v_mul_f32_e32 v21, v35, v36
	v_fmac_f32_e32 v40, v19, v40
	v_fma_f32 v19, -v43, v27, 1.0
	v_div_scale_f32 v34, null, v17, v17, v6
	v_fma_f32 v11, -v29, v38, v31
	v_fma_f32 v29, -v12, v21, v35
	v_mul_f32_e32 v31, v33, v37
	v_fmac_f32_e32 v27, v19, v27
	v_rcp_f32_e32 v19, v34
	v_div_scale_f32 v8, s3, v23, v30, v23
	v_fmac_f32_e32 v21, v29, v36
	v_fma_f32 v29, -v32, v31, v33
	v_div_scale_f32 v44, s4, v10, v28, v10
	v_mul_f32_e32 v42, v8, v40
	v_fma_f32 v12, -v12, v21, v35
	v_fmac_f32_e32 v31, v29, v37
	v_fma_f32 v35, -v34, v19, 1.0
	s_mov_b32 vcc_lo, s0
	ds_swizzle_b32 v25, v4 offset:swizzle(BROADCAST,32,15)
	v_div_fmas_f32 v11, v11, v26, v38
	s_mov_b32 vcc_lo, s2
	v_fma_f32 v26, -v41, v42, v8
	v_mul_f32_e32 v29, v44, v27
	v_div_fmas_f32 v12, v12, v36, v21
	v_fma_f32 v21, -v32, v31, v33
	v_fmac_f32_e32 v19, v35, v19
	v_div_scale_f32 v32, s0, v6, v17, v6
	s_mov_b32 vcc_lo, s1
	v_fmac_f32_e32 v42, v26, v40
	v_fma_f32 v26, -v43, v29, v44
	v_div_fmas_f32 v21, v21, v37, v31
	v_mul_f32_e32 v31, v32, v19
	ds_swizzle_b32 v39, v15 offset:swizzle(BROADCAST,32,15)
	v_fma_f32 v8, -v41, v42, v8
	v_fmac_f32_e32 v29, v26, v27
	s_mov_b32 vcc_lo, s3
	v_fma_f32 v26, -v34, v31, v32
	v_add_f32_e32 v14, v14, v20
	v_div_fmas_f32 v8, v8, v40, v42
	v_fma_f32 v20, -v43, v29, v44
	s_mov_b32 vcc_lo, s4
	v_fmac_f32_e32 v31, v26, v19
	s_waitcnt lgkmcnt(1)
	v_add_f32_e32 v4, v4, v25
	v_div_fixup_f32 v8, v8, v30, v23
	v_div_fmas_f32 v20, v20, v27, v29
	v_div_fixup_f32 v7, v12, v28, v7
	v_fma_f32 v12, -v34, v31, v32
	s_mov_b32 vcc_lo, s0
	v_add_f32_e32 v5, v5, v13
	v_add_f32_e32 v4, v4, v8
	v_div_fixup_f32 v8, v20, v28, v10
	v_div_fmas_f32 v10, v12, v19, v31
	v_div_fixup_f32 v11, v11, v17, v22
	v_add_f32_e32 v5, v5, v7
	v_div_fixup_f32 v7, v21, v17, v18
	v_add_f32_e32 v4, v8, v4
	v_div_fixup_f32 v6, v10, v17, v6
	s_waitcnt lgkmcnt(0)
	v_cmp_gt_f32_e32 vcc_lo, v15, v39
	v_add_f32_e32 v12, v16, v24
	v_add_f32_e32 v11, v14, v11
	;; [unrolled: 1-line block ×4, first 2 shown]
	v_cndmask_b32_e32 v10, v39, v15, vcc_lo
	ds_bpermute_b32 v7, v3, v17 offset:124
	ds_bpermute_b32 v8, v3, v9 offset:124
	;; [unrolled: 1-line block ×7, first 2 shown]
	s_mov_b32 s0, exec_lo
	v_cmpx_eq_u32_e32 0, v1
	s_cbranch_execz .LBB26_3
; %bb.2:
	v_lshrrev_b32_e32 v3, 5, v0
	v_mul_u32_u24_e32 v3, 28, v3
	s_waitcnt lgkmcnt(5)
	ds_write2_b32 v3, v7, v8 offset0:56 offset1:57
	s_waitcnt lgkmcnt(2)
	ds_write2_b32 v3, v9, v10 offset0:58 offset1:59
	;; [unrolled: 2-line block ×3, first 2 shown]
	ds_write_b32 v3, v13 offset:248
.LBB26_3:
	s_or_b32 exec_lo, exec_lo, s0
	s_mov_b32 s4, exec_lo
	s_waitcnt lgkmcnt(0)
	s_barrier
	buffer_gl0_inv
	v_cmpx_gt_u32_e32 32, v0
	s_cbranch_execz .LBB26_5
; %bb.4:
	v_and_b32_e32 v9, 7, v1
	v_lshlrev_b32_e32 v18, 2, v1
	v_mul_u32_u24_e32 v10, 28, v9
	v_cmp_ne_u32_e32 vcc_lo, 7, v9
	v_or_b32_e32 v18, 16, v18
	ds_read2_b32 v[3:4], v10 offset0:56 offset1:57
	ds_read2_b32 v[5:6], v10 offset0:58 offset1:59
	;; [unrolled: 1-line block ×3, first 2 shown]
	v_add_co_ci_u32_e64 v11, null, 0, v1, vcc_lo
	v_cmp_gt_u32_e32 vcc_lo, 6, v9
	ds_read_b32 v10, v10 offset:248
	v_lshlrev_b32_e32 v11, 2, v11
	v_cndmask_b32_e64 v9, 0, 2, vcc_lo
	v_add_lshl_u32 v9, v9, v1, 2
	s_waitcnt lgkmcnt(3)
	ds_bpermute_b32 v14, v11, v4
	s_waitcnt lgkmcnt(3)
	ds_bpermute_b32 v13, v11, v6
	ds_bpermute_b32 v15, v11, v5
	ds_bpermute_b32 v12, v11, v3
	s_waitcnt lgkmcnt(5)
	ds_bpermute_b32 v16, v11, v7
	ds_bpermute_b32 v17, v11, v8
	v_mul_f32_e32 v19, v3, v3
	s_waitcnt lgkmcnt(6)
	ds_bpermute_b32 v11, v11, v10
	s_waitcnt lgkmcnt(6)
	v_cmp_gt_f32_e32 vcc_lo, v4, v14
	s_waitcnt lgkmcnt(5)
	v_sub_f32_e32 v13, v13, v6
	s_waitcnt lgkmcnt(3)
	v_add_f32_e32 v20, v3, v12
	v_mul_f32_e32 v22, v7, v12
	v_cndmask_b32_e32 v4, v4, v14, vcc_lo
	v_cmp_lt_f32_e32 vcc_lo, v5, v15
	v_fma_f32 v23, -v3, v12, v19
	v_mul_f32_e32 v24, v12, v12
	s_waitcnt lgkmcnt(2)
	v_mul_f32_e32 v19, v19, v16
	v_mul_f32_e32 v26, v13, v13
	v_cndmask_b32_e32 v5, v5, v15, vcc_lo
	s_waitcnt lgkmcnt(1)
	v_add_f32_e32 v15, v8, v17
	v_mul_f32_e32 v8, v8, v12
	v_mul_f32_e32 v27, v13, v12
	v_add_f32_e32 v14, v7, v16
	v_fma_f32 v16, v3, v16, -v22
	v_fmac_f32_e32 v19, v7, v24
	v_mul_f32_e32 v7, 4.0, v13
	v_fma_f32 v8, v3, v17, -v8
	v_mul_f32_e32 v22, v13, v26
	v_div_scale_f32 v24, null, v20, v20, v27
	v_mul_f32_e32 v28, 0x40400000, v13
	v_mul_f32_e32 v30, v3, v26
	;; [unrolled: 1-line block ×4, first 2 shown]
	v_rcp_f32_e32 v13, v24
	v_mul_f32_e32 v16, v28, v16
	v_mul_f32_e32 v28, v30, v12
	;; [unrolled: 1-line block ×3, first 2 shown]
	v_sub_f32_e32 v21, v3, v12
	v_mul_f32_e32 v3, v3, v8
	v_mul_f32_e32 v25, v20, v20
	v_div_scale_f32 v32, null, v20, v20, v28
	v_mul_f32_e32 v22, v22, v12
	v_fma_f32 v35, -v24, v13, 1.0
	v_fmac_f32_e32 v23, v12, v12
	v_div_scale_f32 v29, vcc_lo, v27, v20, v27
	v_rcp_f32_e32 v8, v32
	v_mul_f32_e32 v21, v21, v22
	v_mul_f32_e32 v3, v3, v12
	v_fmac_f32_e32 v13, v35, v13
	v_div_scale_f32 v30, null, v20, v20, v16
	v_div_scale_f32 v36, null, v25, v25, v21
	v_mul_f32_e32 v3, v23, v3
	v_mul_f32_e32 v23, v29, v13
	v_fma_f32 v35, -v32, v8, 1.0
	v_rcp_f32_e32 v37, v36
	v_div_scale_f32 v33, s1, v28, v20, v28
	v_fma_f32 v40, -v24, v23, v29
	v_rcp_f32_e32 v34, v30
	v_fmac_f32_e32 v8, v35, v8
	v_mul_f32_e32 v17, v20, v25
	v_div_scale_f32 v38, s2, v21, v25, v21
	v_fmac_f32_e32 v23, v40, v13
	v_mul_f32_e32 v41, v33, v8
	v_fma_f32 v42, -v36, v37, 1.0
	v_mul_f32_e32 v26, 0x40c00000, v26
	v_div_scale_f32 v31, s0, v16, v20, v16
	v_fma_f32 v24, -v24, v23, v29
	v_fma_f32 v35, -v30, v34, 1.0
	v_fma_f32 v40, -v32, v41, v33
	v_fmac_f32_e32 v37, v42, v37
	v_div_scale_f32 v39, null, v17, v17, v3
	v_div_fmas_f32 v13, v24, v13, v23
	v_fmac_f32_e32 v34, v35, v34
	v_fmac_f32_e32 v41, v40, v8
	v_mul_f32_e32 v29, v38, v37
	v_mul_f32_e32 v19, v26, v19
	v_div_fixup_f32 v13, v13, v20, v27
	v_rcp_f32_e32 v35, v39
	v_mul_f32_e32 v23, v31, v34
	v_fma_f32 v32, -v32, v41, v33
	v_fma_f32 v33, -v36, v29, v38
	v_add_f32_e32 v6, v6, v13
	s_mov_b32 vcc_lo, s1
	v_div_scale_f32 v22, null, v25, v25, v19
	v_div_fmas_f32 v8, v32, v8, v41
	v_fmac_f32_e32 v29, v33, v37
	v_fma_f32 v27, -v30, v23, v31
	ds_bpermute_b32 v32, v9, v6
	v_div_scale_f32 v26, null, v20, v20, v7
	v_rcp_f32_e32 v12, v22
	v_fma_f32 v24, -v39, v35, 1.0
	v_fma_f32 v13, -v36, v29, v38
	v_fmac_f32_e32 v23, v27, v34
	ds_bpermute_b32 v27, v9, v20
	s_mov_b32 vcc_lo, s2
	v_div_scale_f32 v42, s3, v3, v17, v3
	v_fmac_f32_e32 v35, v24, v35
	v_div_fixup_f32 v8, v8, v20, v28
	v_rcp_f32_e32 v28, v26
	v_div_fmas_f32 v13, v13, v37, v29
	v_fma_f32 v24, -v22, v12, 1.0
	v_mul_f32_e32 v29, v42, v35
	s_mov_b32 vcc_lo, s0
	s_waitcnt lgkmcnt(2)
	v_add_f32_e32 v10, v10, v11
	v_div_fixup_f32 v13, v13, v25, v21
	v_fma_f32 v21, -v30, v23, v31
	v_fmac_f32_e32 v12, v24, v12
	v_div_scale_f32 v24, s1, v19, v25, v19
	v_fma_f32 v33, -v26, v28, 1.0
	v_fma_f32 v30, -v39, v29, v42
	v_div_fmas_f32 v21, v21, v34, v23
	s_waitcnt lgkmcnt(1)
	v_sub_f32_e32 v23, v32, v6
	v_mul_f32_e32 v31, v24, v12
	v_fmac_f32_e32 v28, v33, v28
	v_div_scale_f32 v33, s2, v7, v20, v7
	v_fmac_f32_e32 v29, v30, v35
	s_waitcnt lgkmcnt(0)
	v_add_f32_e32 v34, v20, v27
	v_mul_f32_e32 v36, v23, v27
	v_fma_f32 v30, -v22, v31, v24
	v_mul_f32_e32 v32, v33, v28
	v_fma_f32 v37, -v39, v29, v42
	s_mov_b32 vcc_lo, s3
	v_div_scale_f32 v38, null, v34, v34, v36
	v_fmac_f32_e32 v31, v30, v12
	v_fma_f32 v30, -v26, v32, v33
	v_div_fmas_f32 v29, v37, v35, v29
	v_rcp_f32_e32 v11, v38
	s_mov_b32 vcc_lo, s1
	v_fma_f32 v22, -v22, v31, v24
	v_fmac_f32_e32 v32, v30, v28
	v_div_fixup_f32 v3, v29, v17, v3
	v_add_f32_e32 v13, v15, v13
	v_div_fixup_f32 v16, v21, v20, v16
	v_div_fmas_f32 v12, v22, v12, v31
	v_fma_f32 v17, -v26, v32, v33
	v_add_f32_e32 v3, v10, v3
	v_fma_f32 v22, -v38, v11, 1.0
	v_mul_f32_e32 v10, v23, v23
	s_mov_b32 vcc_lo, s2
	v_div_fixup_f32 v12, v12, v25, v19
	v_div_fmas_f32 v17, v17, v28, v32
	v_fmac_f32_e32 v11, v22, v11
	v_div_scale_f32 v15, vcc_lo, v36, v34, v36
	v_mul_f32_e32 v19, v20, v10
	v_add_f32_e32 v3, v12, v3
	v_div_fixup_f32 v7, v17, v20, v7
	v_mul_f32_e32 v12, v15, v11
	v_add_f32_e32 v8, v14, v8
	v_mul_f32_e32 v14, v19, v27
	v_add_f32_e32 v13, v16, v13
	v_add_f32_e32 v3, v7, v3
	v_fma_f32 v7, -v38, v12, v15
	ds_bpermute_b32 v21, v9, v8
	v_div_scale_f32 v16, null, v34, v34, v14
	v_mul_f32_e32 v22, v23, v10
	v_fmac_f32_e32 v12, v7, v11
	ds_bpermute_b32 v17, v9, v4
	v_rcp_f32_e32 v7, v16
	v_mul_f32_e32 v26, v34, v34
	v_mul_f32_e32 v28, v20, v22
	v_fma_f32 v15, -v38, v12, v15
	v_mul_f32_e32 v22, v23, v22
	v_mul_f32_e32 v31, 0x40400000, v23
	v_mul_f32_e32 v29, v34, v26
	ds_bpermute_b32 v24, v9, v13
	v_div_fmas_f32 v11, v15, v11, v12
	v_mul_f32_e32 v15, v28, v27
	v_fma_f32 v12, -v16, v7, 1.0
	v_sub_f32_e32 v28, v20, v27
	v_mul_f32_e32 v22, v20, v22
	v_div_fixup_f32 v11, v11, v34, v36
	s_waitcnt lgkmcnt(2)
	v_add_f32_e32 v35, v8, v21
	v_fmac_f32_e32 v7, v12, v7
	v_mul_f32_e32 v12, v28, v15
	v_mul_f32_e32 v15, v8, v27
	v_div_scale_f32 v28, vcc_lo, v14, v34, v14
	s_waitcnt lgkmcnt(1)
	v_cmp_gt_f32_e64 s0, v4, v17
	v_div_scale_f32 v30, null, v26, v26, v12
	v_fma_f32 v15, v20, v21, -v15
	v_add_f32_e32 v6, v6, v11
	v_mul_f32_e32 v11, v28, v7
	v_cndmask_b32_e64 v4, v4, v17, s0
	v_rcp_f32_e32 v17, v30
	v_mul_f32_e32 v15, v31, v15
	v_fma_f32 v31, -v20, v27, v25
	v_fma_f32 v32, -v16, v11, v28
	v_mul_f32_e32 v22, v22, v27
	v_mul_f32_e32 v21, v25, v21
	v_div_scale_f32 v33, null, v34, v34, v15
	v_fmac_f32_e32 v31, v27, v27
	v_fmac_f32_e32 v11, v32, v7
	v_fma_f32 v32, -v30, v17, 1.0
	v_rcp_f32_e32 v36, v33
	v_div_scale_f32 v25, s0, v12, v26, v12
	v_mul_f32_e32 v22, v31, v22
	v_fma_f32 v16, -v16, v11, v28
	v_mul_f32_e32 v28, v27, v27
	v_fmac_f32_e32 v17, v32, v17
	v_mul_f32_e32 v10, 0x40c00000, v10
	v_div_scale_f32 v31, null, v29, v29, v22
	v_fmac_f32_e32 v21, v28, v8
	v_div_fmas_f32 v8, v16, v7, v11
	v_mul_f32_e32 v7, v25, v17
	v_rcp_f32_e32 v37, v31
	v_fma_f32 v32, -v33, v36, 1.0
	v_mul_f32_e32 v10, v10, v21
	v_mul_f32_e32 v27, v13, v27
	v_fma_f32 v28, -v30, v7, v25
	v_div_scale_f32 v11, s1, v15, v34, v15
	v_div_scale_f32 v21, null, v26, v26, v10
	v_fmac_f32_e32 v36, v32, v36
	v_fma_f32 v16, -v31, v37, 1.0
	v_mul_f32_e32 v23, 4.0, v23
	s_waitcnt lgkmcnt(0)
	v_fma_f32 v20, v20, v24, -v27
	v_fmac_f32_e32 v7, v28, v17
	v_mul_f32_e32 v32, v11, v36
	v_fmac_f32_e32 v37, v16, v37
	v_rcp_f32_e32 v16, v21
	v_div_scale_f32 v27, s2, v22, v29, v22
	v_mul_f32_e32 v20, v23, v20
	v_fma_f32 v25, -v30, v7, v25
	s_mov_b32 vcc_lo, s0
	ds_bpermute_b32 v19, v9, v5
	ds_bpermute_b32 v9, v9, v3
	v_add_f32_e32 v13, v13, v24
	v_fma_f32 v23, -v33, v32, v11
	v_mul_f32_e32 v24, v27, v37
	v_fma_f32 v28, -v21, v16, 1.0
	v_div_scale_f32 v38, null, v34, v34, v20
	v_div_fmas_f32 v17, v25, v17, v7
	ds_bpermute_b32 v7, v18, v6
	v_fmac_f32_e32 v32, v23, v36
	v_fma_f32 v23, -v31, v24, v27
	v_fmac_f32_e32 v16, v28, v16
	v_rcp_f32_e32 v28, v38
	v_div_scale_f32 v30, s3, v10, v26, v10
	ds_bpermute_b32 v25, v18, v34
	v_fmac_f32_e32 v24, v23, v37
	v_fma_f32 v11, -v33, v32, v11
	v_mul_f32_e32 v23, v30, v16
	s_mov_b32 vcc_lo, s1
	s_waitcnt lgkmcnt(2)
	v_add_f32_e32 v3, v3, v9
	v_fma_f32 v27, -v31, v24, v27
	v_fma_f32 v33, -v38, v28, 1.0
	v_fma_f32 v31, -v21, v23, v30
	v_div_fmas_f32 v11, v11, v36, v32
	s_mov_b32 vcc_lo, s2
	v_div_scale_f32 v32, s0, v20, v34, v20
	v_fmac_f32_e32 v28, v33, v28
	v_div_fmas_f32 v24, v27, v37, v24
	v_fmac_f32_e32 v23, v31, v16
	s_waitcnt lgkmcnt(1)
	v_sub_f32_e32 v9, v7, v6
	s_mov_b32 vcc_lo, s3
	v_mul_f32_e32 v27, v32, v28
	v_div_fixup_f32 v22, v24, v29, v22
	v_fma_f32 v21, -v21, v23, v30
	s_waitcnt lgkmcnt(0)
	v_add_f32_e32 v7, v34, v25
	v_mul_f32_e32 v29, v9, v25
	v_fma_f32 v24, -v38, v27, v32
	v_div_fixup_f32 v12, v17, v26, v12
	v_div_fmas_f32 v16, v21, v16, v23
	s_mov_b32 vcc_lo, s0
	v_div_scale_f32 v21, null, v7, v7, v29
	v_fmac_f32_e32 v27, v24, v28
	v_div_fixup_f32 v10, v16, v26, v10
	v_div_fixup_f32 v8, v8, v34, v14
	v_rcp_f32_e32 v16, v21
	v_add_f32_e32 v12, v13, v12
	v_fma_f32 v17, -v38, v27, v32
	v_div_fixup_f32 v11, v11, v34, v15
	v_add_f32_e32 v3, v3, v22
	v_add_f32_e32 v14, v35, v8
	v_sub_f32_e32 v31, v34, v25
	v_div_fmas_f32 v17, v17, v28, v27
	v_cmp_lt_f32_e32 vcc_lo, v5, v19
	v_add_f32_e32 v11, v11, v12
	v_fma_f32 v13, -v21, v16, 1.0
	ds_bpermute_b32 v12, v18, v4
	v_add_f32_e32 v3, v10, v3
	v_cndmask_b32_e32 v5, v5, v19, vcc_lo
	v_div_scale_f32 v8, vcc_lo, v29, v7, v29
	v_fmac_f32_e32 v16, v13, v16
	v_div_fixup_f32 v10, v17, v34, v20
	ds_bpermute_b32 v17, v18, v14
	v_mul_f32_e32 v23, v7, v7
	ds_bpermute_b32 v20, v18, v11
	v_mul_f32_e32 v19, v8, v16
	v_add_f32_e32 v3, v10, v3
	v_mul_f32_e32 v10, v9, v9
	v_mul_f32_e32 v30, v7, v23
	ds_bpermute_b32 v15, v18, v5
	v_fma_f32 v24, -v21, v19, v8
	ds_bpermute_b32 v18, v18, v3
	v_mul_f32_e32 v13, v34, v10
	v_mul_f32_e32 v22, v9, v10
	;; [unrolled: 1-line block ×3, first 2 shown]
	v_fmac_f32_e32 v19, v24, v16
	s_waitcnt lgkmcnt(4)
	v_cmp_gt_f32_e64 s0, v4, v12
	v_mul_f32_e32 v13, v13, v25
	v_mul_f32_e32 v28, v34, v22
	;; [unrolled: 1-line block ×3, first 2 shown]
	v_fma_f32 v21, -v21, v19, v8
	v_cndmask_b32_e64 v8, v4, v12, s0
	v_div_scale_f32 v27, null, v7, v7, v13
	v_mul_f32_e32 v28, v28, v25
	v_div_fmas_f32 v12, v21, v16, v19
	v_mul_f32_e32 v16, v14, v25
	v_rcp_f32_e32 v24, v27
	v_mul_f32_e32 v22, v34, v22
	v_mul_f32_e32 v4, v31, v28
	;; [unrolled: 1-line block ×3, first 2 shown]
	s_waitcnt lgkmcnt(3)
	v_fma_f32 v16, v34, v17, -v16
	v_div_fixup_f32 v12, v12, v7, v29
	v_mul_f32_e32 v22, v22, v25
	v_div_scale_f32 v21, null, v23, v23, v4
	v_mul_f32_e32 v16, v28, v16
	v_fma_f32 v28, -v34, v25, v26
	v_fma_f32 v19, -v27, v24, 1.0
	v_rcp_f32_e32 v31, v21
	v_mul_f32_e32 v26, v26, v17
	v_div_scale_f32 v33, null, v7, v7, v16
	v_fmac_f32_e32 v28, v25, v25
	v_fmac_f32_e32 v24, v19, v24
	v_div_scale_f32 v19, vcc_lo, v13, v7, v13
	v_rcp_f32_e32 v36, v33
	v_mul_f32_e32 v22, v28, v22
	v_mul_f32_e32 v28, v25, v25
	;; [unrolled: 1-line block ×3, first 2 shown]
	v_fma_f32 v35, -v21, v31, 1.0
	v_mul_f32_e32 v25, v11, v25
	v_mul_f32_e32 v9, 4.0, v9
	v_fmac_f32_e32 v26, v28, v14
	v_fma_f32 v29, -v27, v32, v19
	v_fmac_f32_e32 v31, v35, v31
	v_div_scale_f32 v35, null, v30, v30, v22
	v_mul_f32_e32 v10, v10, v26
	v_fmac_f32_e32 v32, v29, v24
	s_waitcnt lgkmcnt(2)
	v_fma_f32 v25, v34, v20, -v25
	v_rcp_f32_e32 v38, v35
	v_div_scale_f32 v28, s0, v4, v23, v4
	v_div_scale_f32 v29, null, v23, v23, v10
	v_mul_f32_e32 v9, v9, v25
	v_fma_f32 v37, -v33, v36, 1.0
	v_mul_f32_e32 v26, v28, v31
	v_rcp_f32_e32 v40, v29
	v_fma_f32 v19, -v27, v32, v19
	v_fma_f32 v39, -v35, v38, 1.0
	v_div_scale_f32 v41, null, v7, v7, v9
	v_fmac_f32_e32 v36, v37, v36
	v_div_scale_f32 v37, s1, v16, v7, v16
	v_fmac_f32_e32 v38, v39, v38
	v_fma_f32 v27, -v21, v26, v28
	v_fma_f32 v39, -v29, v40, 1.0
	v_div_scale_f32 v25, s2, v22, v30, v22
	v_mul_f32_e32 v34, v37, v36
	v_fmac_f32_e32 v26, v27, v31
	v_fmac_f32_e32 v40, v39, v40
	v_rcp_f32_e32 v39, v41
	v_mul_f32_e32 v42, v25, v38
	v_fma_f32 v27, -v33, v34, v37
	v_div_scale_f32 v43, s3, v10, v23, v10
	v_div_fmas_f32 v19, v19, v24, v32
	v_fma_f32 v21, -v21, v26, v28
	v_fma_f32 v24, -v35, v42, v25
	v_fmac_f32_e32 v34, v27, v36
	v_mul_f32_e32 v27, v43, v40
	v_fma_f32 v28, -v41, v39, 1.0
	s_mov_b32 vcc_lo, s0
	v_fmac_f32_e32 v42, v24, v38
	v_div_fmas_f32 v21, v21, v31, v26
	v_fma_f32 v26, -v33, v34, v37
	v_fmac_f32_e32 v39, v28, v39
	v_div_scale_f32 v28, s0, v9, v7, v9
	v_fma_f32 v24, -v29, v27, v43
	v_fma_f32 v25, -v35, v42, v25
	s_mov_b32 vcc_lo, s1
	v_mul_f32_e32 v31, v28, v39
	v_div_fmas_f32 v26, v26, v36, v34
	s_mov_b32 vcc_lo, s2
	v_fmac_f32_e32 v27, v24, v40
	v_div_fmas_f32 v24, v25, v38, v42
	v_fma_f32 v25, -v41, v31, v28
	v_add_f32_e32 v14, v14, v17
	s_mov_b32 vcc_lo, s3
	v_fma_f32 v17, -v29, v27, v43
	s_waitcnt lgkmcnt(0)
	v_add_f32_e32 v3, v3, v18
	v_fmac_f32_e32 v31, v25, v39
	v_div_fixup_f32 v18, v24, v30, v22
	v_add_f32_e32 v11, v11, v20
	v_div_fmas_f32 v17, v17, v40, v27
	s_mov_b32 vcc_lo, s0
	v_fma_f32 v20, -v41, v31, v28
	v_div_fixup_f32 v4, v21, v23, v4
	v_add_f32_e32 v3, v3, v18
	v_div_fixup_f32 v10, v17, v23, v10
	v_div_fixup_f32 v13, v19, v7, v13
	v_div_fmas_f32 v17, v20, v39, v31
	v_add_f32_e32 v4, v11, v4
	v_div_fixup_f32 v16, v26, v7, v16
	v_add_f32_e32 v3, v10, v3
	v_cmp_lt_f32_e32 vcc_lo, v5, v15
	v_div_fixup_f32 v17, v17, v7, v9
	v_add_f32_e32 v10, v6, v12
	v_add_f32_e32 v11, v14, v13
	v_add_f32_e32 v12, v16, v4
	v_cndmask_b32_e32 v9, v5, v15, vcc_lo
	v_add_f32_e32 v13, v17, v3
.LBB26_5:
	s_or_b32 exec_lo, exec_lo, s4
	s_branch .LBB26_32
.LBB26_6:
                                        ; implicit-def: $vgpr7
                                        ; implicit-def: $vgpr9
                                        ; implicit-def: $vgpr11
                                        ; implicit-def: $vgpr13
	s_cbranch_execz .LBB26_32
; %bb.7:
	s_sub_i32 s0, s10, s26
	s_mov_b32 s1, exec_lo
                                        ; implicit-def: $vgpr10
	v_cmpx_gt_u32_e64 s0, v0
	s_cbranch_execz .LBB26_9
; %bb.8:
	v_add_co_u32 v3, s2, s8, v2
	v_add_co_ci_u32_e64 v4, null, s9, 0, s2
	flat_load_dword v10, v[3:4]
.LBB26_9:
	s_or_b32 exec_lo, exec_lo, s1
	v_or_b32_e32 v3, 0x100, v0
	v_mov_b32_e32 v7, 1.0
	v_mov_b32_e32 v13, 0
	v_mov_b32_e32 v12, 0
	;; [unrolled: 1-line block ×3, first 2 shown]
	s_waitcnt vmcnt(0) lgkmcnt(0)
	v_mov_b32_e32 v9, v10
	v_mov_b32_e32 v8, v10
	s_mov_b32 s1, exec_lo
	v_cmpx_gt_u32_e64 s0, v3
	s_cbranch_execz .LBB26_11
; %bb.10:
	v_add_co_u32 v2, s2, s8, v2
	v_add_co_ci_u32_e64 v3, null, s9, 0, s2
	v_mov_b32_e32 v6, 0
	flat_load_dword v2, v[2:3] offset:1024
	s_waitcnt vmcnt(0) lgkmcnt(0)
	v_sub_f32_e32 v3, v2, v10
	v_cmp_lt_f32_e32 vcc_lo, v2, v10
	v_mul_f32_e32 v4, v3, v3
	v_mul_f32_e32 v9, 0x40400000, v3
	v_mul_f32_e32 v11, 4.0, v3
	v_mul_f32_e32 v5, v3, v4
	v_mul_f32_e32 v7, 0x40c00000, v4
	;; [unrolled: 1-line block ×3, first 2 shown]
	v_fma_f32 v11, v4, 0.5, 0
	v_mul_f32_e32 v8, v3, v5
	v_mul_f32_e32 v5, 0, v5
	;; [unrolled: 1-line block ×3, first 2 shown]
	v_fmamk_f32 v13, v8, 0x3e000000, v6
	v_cndmask_b32_e32 v8, v10, v2, vcc_lo
	v_mul_f32_e32 v6, 0, v9
	v_fma_f32 v12, 0x3e800000, v5, 0
	v_cmp_lt_f32_e32 vcc_lo, v10, v2
	v_fmac_f32_e32 v13, 0x3e800000, v7
	v_mov_b32_e32 v7, 2.0
	v_fmac_f32_e32 v12, 0.5, v6
	v_cndmask_b32_e32 v9, v10, v2, vcc_lo
	v_fmac_f32_e32 v10, 0.5, v3
	v_fmac_f32_e32 v13, 0.5, v14
.LBB26_11:
	s_or_b32 exec_lo, exec_lo, s1
	v_cmp_ne_u32_e32 vcc_lo, 31, v1
	s_min_u32 s4, s0, 0x100
	v_add_nc_u32_e32 v17, 1, v1
	s_mov_b32 s0, exec_lo
	v_add_co_ci_u32_e64 v2, null, 0, v1, vcc_lo
	v_lshlrev_b32_e32 v2, 2, v2
	ds_bpermute_b32 v6, v2, v7
	ds_bpermute_b32 v15, v2, v8
	;; [unrolled: 1-line block ×7, first 2 shown]
	v_and_b32_e32 v2, 0xe0, v0
	v_sub_nc_u32_e64 v2, s4, v2 clamp
	v_cmpx_lt_u32_e64 v17, v2
	s_xor_b32 s5, exec_lo, s0
	s_cbranch_execz .LBB26_13
; %bb.12:
	s_waitcnt lgkmcnt(3)
	v_sub_f32_e32 v16, v16, v10
	v_add_f32_e32 v17, v7, v6
	v_cmp_gt_f32_e32 vcc_lo, v8, v15
	v_sub_f32_e32 v20, v7, v6
	v_mul_f32_e32 v21, v11, v6
	v_mul_f32_e32 v18, v16, v6
	;; [unrolled: 1-line block ×3, first 2 shown]
	v_cndmask_b32_e32 v8, v8, v15, vcc_lo
	v_mul_f32_e32 v24, v7, v7
	v_mul_f32_e32 v28, 0x40400000, v16
	v_div_scale_f32 v22, null, v17, v17, v18
	v_mul_f32_e32 v23, v7, v19
	v_mul_f32_e32 v26, v16, v19
	v_div_scale_f32 v35, vcc_lo, v18, v17, v18
	v_rcp_f32_e32 v27, v22
	v_mul_f32_e32 v23, v23, v6
	v_mul_f32_e32 v29, v7, v26
	v_mul_f32_e32 v26, v16, v26
	s_waitcnt lgkmcnt(2)
	v_fma_f32 v21, v7, v14, -v21
	v_fma_f32 v31, -v7, v6, v24
	v_div_scale_f32 v30, null, v17, v17, v23
	v_mul_f32_e32 v29, v29, v6
	v_mul_f32_e32 v26, v7, v26
	v_fma_f32 v33, -v22, v27, 1.0
	v_rcp_f32_e32 v34, v30
	v_mul_f32_e32 v25, v17, v17
	v_mul_f32_e32 v20, v20, v29
	;; [unrolled: 1-line block ×3, first 2 shown]
	v_fmac_f32_e32 v27, v33, v27
	v_fmac_f32_e32 v31, v6, v6
	v_mul_f32_e32 v26, v26, v6
	v_mul_f32_e32 v32, v17, v25
	v_div_scale_f32 v28, null, v25, v25, v20
	v_mul_f32_e32 v29, v35, v27
	v_fma_f32 v33, -v30, v34, 1.0
	v_mul_f32_e32 v26, v31, v26
	v_add_f32_e32 v15, v11, v14
	v_div_scale_f32 v36, s0, v23, v17, v23
	v_fma_f32 v38, -v22, v29, v35
	v_fmac_f32_e32 v34, v33, v34
	v_div_scale_f32 v33, null, v17, v17, v21
	v_rcp_f32_e32 v37, v28
	v_fmac_f32_e32 v29, v38, v27
	v_mul_f32_e32 v14, v24, v14
	v_rcp_f32_e32 v39, v33
	v_div_scale_f32 v24, null, v32, v32, v26
	v_fma_f32 v22, -v22, v29, v35
	v_mul_f32_e32 v38, v36, v34
	v_mul_f32_e32 v19, 0x40c00000, v19
	v_mul_f32_e32 v16, 4.0, v16
	v_fma_f32 v40, -v28, v37, 1.0
	v_div_fmas_f32 v22, v22, v27, v29
	v_mul_f32_e32 v27, v6, v6
	v_rcp_f32_e32 v29, v24
	v_mul_f32_e32 v6, v12, v6
	v_fma_f32 v35, -v30, v38, v36
	v_fmac_f32_e32 v37, v40, v37
	v_fmac_f32_e32 v14, v11, v27
	v_fma_f32 v27, -v33, v39, 1.0
	s_waitcnt lgkmcnt(1)
	v_fma_f32 v6, v7, v5, -v6
	v_fmac_f32_e32 v38, v35, v34
	v_div_scale_f32 v11, s1, v20, v25, v20
	v_mul_f32_e32 v14, v19, v14
	v_fmac_f32_e32 v39, v27, v39
	v_fma_f32 v35, -v24, v29, 1.0
	v_mul_f32_e32 v6, v16, v6
	v_fma_f32 v19, -v30, v38, v36
	v_div_scale_f32 v27, null, v25, v25, v14
	v_mul_f32_e32 v30, v11, v37
	v_fmac_f32_e32 v29, v35, v29
	v_div_scale_f32 v35, null, v17, v17, v6
	v_rcp_f32_e32 v7, v27
	v_div_scale_f32 v31, s2, v21, v17, v21
	s_mov_b32 vcc_lo, s0
	v_fma_f32 v16, -v28, v30, v11
	v_div_scale_f32 v36, s0, v26, v32, v26
	v_rcp_f32_e32 v40, v35
	v_div_fmas_f32 v19, v19, v34, v38
	v_mul_f32_e32 v34, v31, v39
	v_fma_f32 v38, -v27, v7, 1.0
	v_fmac_f32_e32 v30, v16, v37
	v_mul_f32_e32 v41, v36, v29
	v_add_f32_e32 v5, v12, v5
	v_fma_f32 v16, -v33, v34, v31
	v_fmac_f32_e32 v7, v38, v7
	v_div_scale_f32 v38, s3, v14, v25, v14
	v_fma_f32 v11, -v28, v30, v11
	v_fma_f32 v12, -v24, v41, v36
	v_fma_f32 v28, -v35, v40, 1.0
	v_fmac_f32_e32 v34, v16, v39
	v_mul_f32_e32 v16, v38, v7
	s_mov_b32 vcc_lo, s1
	v_fmac_f32_e32 v41, v12, v29
	v_fmac_f32_e32 v40, v28, v40
	v_div_scale_f32 v28, s1, v6, v17, v6
	v_div_fmas_f32 v11, v11, v37, v30
	v_fma_f32 v30, -v33, v34, v31
	v_fma_f32 v12, -v27, v16, v38
	;; [unrolled: 1-line block ×3, first 2 shown]
	v_mul_f32_e32 v31, v28, v40
	s_mov_b32 vcc_lo, s2
	v_div_fixup_f32 v11, v11, v25, v20
	v_div_fmas_f32 v30, v30, v39, v34
	s_mov_b32 vcc_lo, s0
	v_fmac_f32_e32 v16, v12, v7
	v_div_fmas_f32 v12, v24, v29, v41
	v_fma_f32 v24, -v35, v31, v28
	s_waitcnt lgkmcnt(0)
	v_add_f32_e32 v4, v13, v4
	s_mov_b32 vcc_lo, s3
	v_fma_f32 v13, -v27, v16, v38
	v_div_fixup_f32 v12, v12, v32, v26
	v_fmac_f32_e32 v31, v24, v40
	v_add_f32_e32 v5, v5, v11
	v_div_fmas_f32 v7, v13, v7, v16
	s_mov_b32 vcc_lo, s1
	v_fma_f32 v11, -v35, v31, v28
	v_div_fixup_f32 v13, v19, v17, v23
	v_add_f32_e32 v4, v4, v12
	v_div_fixup_f32 v7, v7, v25, v14
	v_div_fixup_f32 v12, v30, v17, v21
	v_div_fmas_f32 v11, v11, v40, v31
	v_div_fixup_f32 v14, v22, v17, v18
	v_add_f32_e32 v15, v15, v13
	v_add_f32_e32 v4, v7, v4
	v_cmp_lt_f32_e32 vcc_lo, v9, v3
	v_div_fixup_f32 v6, v11, v17, v6
	v_add_f32_e32 v12, v12, v5
	v_add_f32_e32 v10, v10, v14
	v_mov_b32_e32 v11, v15
	v_cndmask_b32_e32 v9, v9, v3, vcc_lo
	v_add_f32_e32 v13, v6, v4
	v_mov_b32_e32 v7, v17
.LBB26_13:
	s_or_b32 exec_lo, exec_lo, s5
	v_cmp_gt_u32_e32 vcc_lo, 30, v1
	v_add_nc_u32_e32 v17, 2, v1
	s_mov_b32 s5, exec_lo
	s_waitcnt lgkmcnt(4)
	v_cndmask_b32_e64 v3, 0, 2, vcc_lo
	s_waitcnt lgkmcnt(0)
	v_add_lshl_u32 v4, v3, v1, 2
	ds_bpermute_b32 v6, v4, v7
	ds_bpermute_b32 v15, v4, v8
	;; [unrolled: 1-line block ×7, first 2 shown]
	v_cmpx_lt_u32_e64 v17, v2
	s_cbranch_execz .LBB26_15
; %bb.14:
	s_waitcnt lgkmcnt(3)
	v_sub_f32_e32 v16, v16, v10
	v_add_f32_e32 v17, v7, v6
	v_cmp_gt_f32_e32 vcc_lo, v8, v15
	v_sub_f32_e32 v20, v7, v6
	v_mul_f32_e32 v21, v11, v6
	v_mul_f32_e32 v18, v16, v6
	;; [unrolled: 1-line block ×3, first 2 shown]
	v_cndmask_b32_e32 v8, v8, v15, vcc_lo
	v_mul_f32_e32 v24, v7, v7
	v_mul_f32_e32 v28, 0x40400000, v16
	v_div_scale_f32 v22, null, v17, v17, v18
	v_mul_f32_e32 v23, v7, v19
	v_mul_f32_e32 v26, v16, v19
	v_div_scale_f32 v35, vcc_lo, v18, v17, v18
	v_rcp_f32_e32 v27, v22
	v_mul_f32_e32 v23, v23, v6
	v_mul_f32_e32 v29, v7, v26
	;; [unrolled: 1-line block ×3, first 2 shown]
	s_waitcnt lgkmcnt(2)
	v_fma_f32 v21, v7, v14, -v21
	v_fma_f32 v31, -v7, v6, v24
	v_div_scale_f32 v30, null, v17, v17, v23
	v_mul_f32_e32 v29, v29, v6
	v_mul_f32_e32 v26, v7, v26
	v_fma_f32 v33, -v22, v27, 1.0
	v_rcp_f32_e32 v34, v30
	v_mul_f32_e32 v25, v17, v17
	v_mul_f32_e32 v20, v20, v29
	;; [unrolled: 1-line block ×3, first 2 shown]
	v_fmac_f32_e32 v27, v33, v27
	v_fmac_f32_e32 v31, v6, v6
	v_mul_f32_e32 v26, v26, v6
	v_mul_f32_e32 v32, v17, v25
	v_div_scale_f32 v28, null, v25, v25, v20
	v_mul_f32_e32 v29, v35, v27
	v_fma_f32 v33, -v30, v34, 1.0
	v_mul_f32_e32 v26, v31, v26
	v_add_f32_e32 v15, v11, v14
	v_div_scale_f32 v36, s0, v23, v17, v23
	v_fma_f32 v38, -v22, v29, v35
	v_fmac_f32_e32 v34, v33, v34
	v_div_scale_f32 v33, null, v17, v17, v21
	v_rcp_f32_e32 v37, v28
	v_fmac_f32_e32 v29, v38, v27
	v_mul_f32_e32 v14, v24, v14
	v_rcp_f32_e32 v39, v33
	v_div_scale_f32 v24, null, v32, v32, v26
	v_fma_f32 v22, -v22, v29, v35
	v_mul_f32_e32 v38, v36, v34
	v_mul_f32_e32 v19, 0x40c00000, v19
	v_mul_f32_e32 v16, 4.0, v16
	v_fma_f32 v40, -v28, v37, 1.0
	v_div_fmas_f32 v22, v22, v27, v29
	v_mul_f32_e32 v27, v6, v6
	v_rcp_f32_e32 v29, v24
	v_mul_f32_e32 v6, v12, v6
	v_fma_f32 v35, -v30, v38, v36
	v_fmac_f32_e32 v37, v40, v37
	v_fmac_f32_e32 v14, v11, v27
	v_fma_f32 v27, -v33, v39, 1.0
	s_waitcnt lgkmcnt(1)
	v_fma_f32 v6, v7, v5, -v6
	v_fmac_f32_e32 v38, v35, v34
	v_div_scale_f32 v11, s1, v20, v25, v20
	v_mul_f32_e32 v14, v19, v14
	v_fmac_f32_e32 v39, v27, v39
	v_fma_f32 v35, -v24, v29, 1.0
	v_mul_f32_e32 v6, v16, v6
	v_fma_f32 v19, -v30, v38, v36
	v_div_scale_f32 v27, null, v25, v25, v14
	v_mul_f32_e32 v30, v11, v37
	v_fmac_f32_e32 v29, v35, v29
	v_div_scale_f32 v35, null, v17, v17, v6
	v_rcp_f32_e32 v7, v27
	v_div_scale_f32 v31, s2, v21, v17, v21
	s_mov_b32 vcc_lo, s0
	v_fma_f32 v16, -v28, v30, v11
	v_div_scale_f32 v36, s0, v26, v32, v26
	v_rcp_f32_e32 v40, v35
	v_div_fmas_f32 v19, v19, v34, v38
	v_mul_f32_e32 v34, v31, v39
	v_fma_f32 v38, -v27, v7, 1.0
	v_fmac_f32_e32 v30, v16, v37
	v_mul_f32_e32 v41, v36, v29
	v_add_f32_e32 v5, v12, v5
	v_fma_f32 v16, -v33, v34, v31
	v_fmac_f32_e32 v7, v38, v7
	v_div_scale_f32 v38, s3, v14, v25, v14
	v_fma_f32 v11, -v28, v30, v11
	v_fma_f32 v12, -v24, v41, v36
	v_fma_f32 v28, -v35, v40, 1.0
	v_fmac_f32_e32 v34, v16, v39
	v_mul_f32_e32 v16, v38, v7
	s_mov_b32 vcc_lo, s1
	v_fmac_f32_e32 v41, v12, v29
	v_fmac_f32_e32 v40, v28, v40
	v_div_scale_f32 v28, s1, v6, v17, v6
	v_div_fmas_f32 v11, v11, v37, v30
	v_fma_f32 v30, -v33, v34, v31
	v_fma_f32 v12, -v27, v16, v38
	;; [unrolled: 1-line block ×3, first 2 shown]
	v_mul_f32_e32 v31, v28, v40
	s_mov_b32 vcc_lo, s2
	v_div_fixup_f32 v11, v11, v25, v20
	v_div_fmas_f32 v30, v30, v39, v34
	s_mov_b32 vcc_lo, s0
	v_fmac_f32_e32 v16, v12, v7
	v_div_fmas_f32 v12, v24, v29, v41
	v_fma_f32 v24, -v35, v31, v28
	s_waitcnt lgkmcnt(0)
	v_add_f32_e32 v4, v13, v4
	s_mov_b32 vcc_lo, s3
	v_fma_f32 v13, -v27, v16, v38
	v_div_fixup_f32 v12, v12, v32, v26
	v_fmac_f32_e32 v31, v24, v40
	v_add_f32_e32 v5, v5, v11
	v_div_fmas_f32 v7, v13, v7, v16
	s_mov_b32 vcc_lo, s1
	v_fma_f32 v11, -v35, v31, v28
	v_div_fixup_f32 v13, v19, v17, v23
	v_add_f32_e32 v4, v4, v12
	v_div_fixup_f32 v7, v7, v25, v14
	v_div_fixup_f32 v12, v30, v17, v21
	v_div_fmas_f32 v11, v11, v40, v31
	v_div_fixup_f32 v14, v22, v17, v18
	v_add_f32_e32 v15, v15, v13
	v_add_f32_e32 v4, v7, v4
	v_cmp_lt_f32_e32 vcc_lo, v9, v3
	v_div_fixup_f32 v6, v11, v17, v6
	v_add_f32_e32 v12, v12, v5
	v_add_f32_e32 v10, v10, v14
	v_mov_b32_e32 v11, v15
	v_cndmask_b32_e32 v9, v9, v3, vcc_lo
	v_add_f32_e32 v13, v6, v4
	v_mov_b32_e32 v7, v17
.LBB26_15:
	s_or_b32 exec_lo, exec_lo, s5
	v_cmp_gt_u32_e32 vcc_lo, 28, v1
	v_add_nc_u32_e32 v17, 4, v1
	s_mov_b32 s5, exec_lo
	s_waitcnt lgkmcnt(4)
	v_cndmask_b32_e64 v3, 0, 4, vcc_lo
	s_waitcnt lgkmcnt(0)
	v_add_lshl_u32 v4, v3, v1, 2
	ds_bpermute_b32 v6, v4, v7
	ds_bpermute_b32 v15, v4, v8
	;; [unrolled: 1-line block ×7, first 2 shown]
	v_cmpx_lt_u32_e64 v17, v2
	s_cbranch_execz .LBB26_17
; %bb.16:
	s_waitcnt lgkmcnt(3)
	v_sub_f32_e32 v16, v16, v10
	v_add_f32_e32 v17, v7, v6
	v_cmp_gt_f32_e32 vcc_lo, v8, v15
	v_sub_f32_e32 v20, v7, v6
	v_mul_f32_e32 v21, v11, v6
	v_mul_f32_e32 v18, v16, v6
	;; [unrolled: 1-line block ×3, first 2 shown]
	v_cndmask_b32_e32 v8, v8, v15, vcc_lo
	v_mul_f32_e32 v24, v7, v7
	v_mul_f32_e32 v28, 0x40400000, v16
	v_div_scale_f32 v22, null, v17, v17, v18
	v_mul_f32_e32 v23, v7, v19
	v_mul_f32_e32 v26, v16, v19
	v_div_scale_f32 v35, vcc_lo, v18, v17, v18
	v_rcp_f32_e32 v27, v22
	v_mul_f32_e32 v23, v23, v6
	v_mul_f32_e32 v29, v7, v26
	;; [unrolled: 1-line block ×3, first 2 shown]
	s_waitcnt lgkmcnt(2)
	v_fma_f32 v21, v7, v14, -v21
	v_fma_f32 v31, -v7, v6, v24
	v_div_scale_f32 v30, null, v17, v17, v23
	v_mul_f32_e32 v29, v29, v6
	v_mul_f32_e32 v26, v7, v26
	v_fma_f32 v33, -v22, v27, 1.0
	v_rcp_f32_e32 v34, v30
	v_mul_f32_e32 v25, v17, v17
	v_mul_f32_e32 v20, v20, v29
	;; [unrolled: 1-line block ×3, first 2 shown]
	v_fmac_f32_e32 v27, v33, v27
	v_fmac_f32_e32 v31, v6, v6
	v_mul_f32_e32 v26, v26, v6
	v_mul_f32_e32 v32, v17, v25
	v_div_scale_f32 v28, null, v25, v25, v20
	v_mul_f32_e32 v29, v35, v27
	v_fma_f32 v33, -v30, v34, 1.0
	v_mul_f32_e32 v26, v31, v26
	v_add_f32_e32 v15, v11, v14
	v_div_scale_f32 v36, s0, v23, v17, v23
	v_fma_f32 v38, -v22, v29, v35
	v_fmac_f32_e32 v34, v33, v34
	v_div_scale_f32 v33, null, v17, v17, v21
	v_rcp_f32_e32 v37, v28
	v_fmac_f32_e32 v29, v38, v27
	v_mul_f32_e32 v14, v24, v14
	v_rcp_f32_e32 v39, v33
	v_div_scale_f32 v24, null, v32, v32, v26
	v_fma_f32 v22, -v22, v29, v35
	v_mul_f32_e32 v38, v36, v34
	v_mul_f32_e32 v19, 0x40c00000, v19
	v_mul_f32_e32 v16, 4.0, v16
	v_fma_f32 v40, -v28, v37, 1.0
	v_div_fmas_f32 v22, v22, v27, v29
	v_mul_f32_e32 v27, v6, v6
	v_rcp_f32_e32 v29, v24
	v_mul_f32_e32 v6, v12, v6
	v_fma_f32 v35, -v30, v38, v36
	v_fmac_f32_e32 v37, v40, v37
	v_fmac_f32_e32 v14, v11, v27
	v_fma_f32 v27, -v33, v39, 1.0
	s_waitcnt lgkmcnt(1)
	v_fma_f32 v6, v7, v5, -v6
	v_fmac_f32_e32 v38, v35, v34
	v_div_scale_f32 v11, s1, v20, v25, v20
	v_mul_f32_e32 v14, v19, v14
	v_fmac_f32_e32 v39, v27, v39
	v_fma_f32 v35, -v24, v29, 1.0
	v_mul_f32_e32 v6, v16, v6
	v_fma_f32 v19, -v30, v38, v36
	v_div_scale_f32 v27, null, v25, v25, v14
	v_mul_f32_e32 v30, v11, v37
	v_fmac_f32_e32 v29, v35, v29
	v_div_scale_f32 v35, null, v17, v17, v6
	v_rcp_f32_e32 v7, v27
	v_div_scale_f32 v31, s2, v21, v17, v21
	s_mov_b32 vcc_lo, s0
	v_fma_f32 v16, -v28, v30, v11
	v_div_scale_f32 v36, s0, v26, v32, v26
	v_rcp_f32_e32 v40, v35
	v_div_fmas_f32 v19, v19, v34, v38
	v_mul_f32_e32 v34, v31, v39
	v_fma_f32 v38, -v27, v7, 1.0
	v_fmac_f32_e32 v30, v16, v37
	v_mul_f32_e32 v41, v36, v29
	v_add_f32_e32 v5, v12, v5
	v_fma_f32 v16, -v33, v34, v31
	v_fmac_f32_e32 v7, v38, v7
	v_div_scale_f32 v38, s3, v14, v25, v14
	v_fma_f32 v11, -v28, v30, v11
	v_fma_f32 v12, -v24, v41, v36
	v_fma_f32 v28, -v35, v40, 1.0
	v_fmac_f32_e32 v34, v16, v39
	v_mul_f32_e32 v16, v38, v7
	s_mov_b32 vcc_lo, s1
	v_fmac_f32_e32 v41, v12, v29
	v_fmac_f32_e32 v40, v28, v40
	v_div_scale_f32 v28, s1, v6, v17, v6
	v_div_fmas_f32 v11, v11, v37, v30
	v_fma_f32 v30, -v33, v34, v31
	v_fma_f32 v12, -v27, v16, v38
	;; [unrolled: 1-line block ×3, first 2 shown]
	v_mul_f32_e32 v31, v28, v40
	s_mov_b32 vcc_lo, s2
	v_div_fixup_f32 v11, v11, v25, v20
	v_div_fmas_f32 v30, v30, v39, v34
	s_mov_b32 vcc_lo, s0
	v_fmac_f32_e32 v16, v12, v7
	v_div_fmas_f32 v12, v24, v29, v41
	v_fma_f32 v24, -v35, v31, v28
	s_waitcnt lgkmcnt(0)
	v_add_f32_e32 v4, v13, v4
	s_mov_b32 vcc_lo, s3
	v_fma_f32 v13, -v27, v16, v38
	v_div_fixup_f32 v12, v12, v32, v26
	v_fmac_f32_e32 v31, v24, v40
	v_add_f32_e32 v5, v5, v11
	v_div_fmas_f32 v7, v13, v7, v16
	s_mov_b32 vcc_lo, s1
	v_fma_f32 v11, -v35, v31, v28
	v_div_fixup_f32 v13, v19, v17, v23
	v_add_f32_e32 v4, v4, v12
	v_div_fixup_f32 v7, v7, v25, v14
	v_div_fixup_f32 v12, v30, v17, v21
	v_div_fmas_f32 v11, v11, v40, v31
	v_div_fixup_f32 v14, v22, v17, v18
	v_add_f32_e32 v15, v15, v13
	v_add_f32_e32 v4, v7, v4
	v_cmp_lt_f32_e32 vcc_lo, v9, v3
	v_div_fixup_f32 v6, v11, v17, v6
	v_add_f32_e32 v12, v12, v5
	v_add_f32_e32 v10, v10, v14
	v_mov_b32_e32 v11, v15
	v_cndmask_b32_e32 v9, v9, v3, vcc_lo
	v_add_f32_e32 v13, v6, v4
	v_mov_b32_e32 v7, v17
.LBB26_17:
	s_or_b32 exec_lo, exec_lo, s5
	v_cmp_gt_u32_e32 vcc_lo, 24, v1
	v_add_nc_u32_e32 v17, 8, v1
	s_mov_b32 s5, exec_lo
	s_waitcnt lgkmcnt(4)
	v_cndmask_b32_e64 v3, 0, 8, vcc_lo
	s_waitcnt lgkmcnt(0)
	v_add_lshl_u32 v4, v3, v1, 2
	ds_bpermute_b32 v6, v4, v7
	ds_bpermute_b32 v15, v4, v8
	;; [unrolled: 1-line block ×7, first 2 shown]
	v_cmpx_lt_u32_e64 v17, v2
	s_cbranch_execz .LBB26_19
; %bb.18:
	s_waitcnt lgkmcnt(3)
	v_sub_f32_e32 v16, v16, v10
	v_add_f32_e32 v17, v7, v6
	v_cmp_gt_f32_e32 vcc_lo, v8, v15
	v_sub_f32_e32 v20, v7, v6
	v_mul_f32_e32 v21, v11, v6
	v_mul_f32_e32 v18, v16, v6
	;; [unrolled: 1-line block ×3, first 2 shown]
	v_cndmask_b32_e32 v8, v8, v15, vcc_lo
	v_mul_f32_e32 v24, v7, v7
	v_mul_f32_e32 v28, 0x40400000, v16
	v_div_scale_f32 v22, null, v17, v17, v18
	v_mul_f32_e32 v23, v7, v19
	v_mul_f32_e32 v26, v16, v19
	v_div_scale_f32 v35, vcc_lo, v18, v17, v18
	v_rcp_f32_e32 v27, v22
	v_mul_f32_e32 v23, v23, v6
	v_mul_f32_e32 v29, v7, v26
	;; [unrolled: 1-line block ×3, first 2 shown]
	s_waitcnt lgkmcnt(2)
	v_fma_f32 v21, v7, v14, -v21
	v_fma_f32 v31, -v7, v6, v24
	v_div_scale_f32 v30, null, v17, v17, v23
	v_mul_f32_e32 v29, v29, v6
	v_mul_f32_e32 v26, v7, v26
	v_fma_f32 v33, -v22, v27, 1.0
	v_rcp_f32_e32 v34, v30
	v_mul_f32_e32 v25, v17, v17
	v_mul_f32_e32 v20, v20, v29
	;; [unrolled: 1-line block ×3, first 2 shown]
	v_fmac_f32_e32 v27, v33, v27
	v_fmac_f32_e32 v31, v6, v6
	v_mul_f32_e32 v26, v26, v6
	v_mul_f32_e32 v32, v17, v25
	v_div_scale_f32 v28, null, v25, v25, v20
	v_mul_f32_e32 v29, v35, v27
	v_fma_f32 v33, -v30, v34, 1.0
	v_mul_f32_e32 v26, v31, v26
	v_add_f32_e32 v15, v11, v14
	v_div_scale_f32 v36, s0, v23, v17, v23
	v_fma_f32 v38, -v22, v29, v35
	v_fmac_f32_e32 v34, v33, v34
	v_div_scale_f32 v33, null, v17, v17, v21
	v_rcp_f32_e32 v37, v28
	v_fmac_f32_e32 v29, v38, v27
	v_mul_f32_e32 v14, v24, v14
	v_rcp_f32_e32 v39, v33
	v_div_scale_f32 v24, null, v32, v32, v26
	v_fma_f32 v22, -v22, v29, v35
	v_mul_f32_e32 v38, v36, v34
	v_mul_f32_e32 v19, 0x40c00000, v19
	v_mul_f32_e32 v16, 4.0, v16
	v_fma_f32 v40, -v28, v37, 1.0
	v_div_fmas_f32 v22, v22, v27, v29
	v_mul_f32_e32 v27, v6, v6
	v_rcp_f32_e32 v29, v24
	v_mul_f32_e32 v6, v12, v6
	v_fma_f32 v35, -v30, v38, v36
	v_fmac_f32_e32 v37, v40, v37
	v_fmac_f32_e32 v14, v11, v27
	v_fma_f32 v27, -v33, v39, 1.0
	s_waitcnt lgkmcnt(1)
	v_fma_f32 v6, v7, v5, -v6
	v_fmac_f32_e32 v38, v35, v34
	v_div_scale_f32 v11, s1, v20, v25, v20
	v_mul_f32_e32 v14, v19, v14
	v_fmac_f32_e32 v39, v27, v39
	v_fma_f32 v35, -v24, v29, 1.0
	v_mul_f32_e32 v6, v16, v6
	v_fma_f32 v19, -v30, v38, v36
	v_div_scale_f32 v27, null, v25, v25, v14
	v_mul_f32_e32 v30, v11, v37
	v_fmac_f32_e32 v29, v35, v29
	v_div_scale_f32 v35, null, v17, v17, v6
	v_rcp_f32_e32 v7, v27
	v_div_scale_f32 v31, s2, v21, v17, v21
	s_mov_b32 vcc_lo, s0
	v_fma_f32 v16, -v28, v30, v11
	v_div_scale_f32 v36, s0, v26, v32, v26
	v_rcp_f32_e32 v40, v35
	v_div_fmas_f32 v19, v19, v34, v38
	v_mul_f32_e32 v34, v31, v39
	v_fma_f32 v38, -v27, v7, 1.0
	v_fmac_f32_e32 v30, v16, v37
	v_mul_f32_e32 v41, v36, v29
	v_add_f32_e32 v5, v12, v5
	v_fma_f32 v16, -v33, v34, v31
	v_fmac_f32_e32 v7, v38, v7
	v_div_scale_f32 v38, s3, v14, v25, v14
	v_fma_f32 v11, -v28, v30, v11
	v_fma_f32 v12, -v24, v41, v36
	v_fma_f32 v28, -v35, v40, 1.0
	v_fmac_f32_e32 v34, v16, v39
	v_mul_f32_e32 v16, v38, v7
	s_mov_b32 vcc_lo, s1
	v_fmac_f32_e32 v41, v12, v29
	v_fmac_f32_e32 v40, v28, v40
	v_div_scale_f32 v28, s1, v6, v17, v6
	v_div_fmas_f32 v11, v11, v37, v30
	v_fma_f32 v30, -v33, v34, v31
	v_fma_f32 v12, -v27, v16, v38
	;; [unrolled: 1-line block ×3, first 2 shown]
	v_mul_f32_e32 v31, v28, v40
	s_mov_b32 vcc_lo, s2
	v_div_fixup_f32 v11, v11, v25, v20
	v_div_fmas_f32 v30, v30, v39, v34
	s_mov_b32 vcc_lo, s0
	v_fmac_f32_e32 v16, v12, v7
	v_div_fmas_f32 v12, v24, v29, v41
	v_fma_f32 v24, -v35, v31, v28
	s_waitcnt lgkmcnt(0)
	v_add_f32_e32 v4, v13, v4
	s_mov_b32 vcc_lo, s3
	v_fma_f32 v13, -v27, v16, v38
	v_div_fixup_f32 v12, v12, v32, v26
	v_fmac_f32_e32 v31, v24, v40
	v_add_f32_e32 v5, v5, v11
	v_div_fmas_f32 v7, v13, v7, v16
	s_mov_b32 vcc_lo, s1
	v_fma_f32 v11, -v35, v31, v28
	v_div_fixup_f32 v13, v19, v17, v23
	v_add_f32_e32 v4, v4, v12
	v_div_fixup_f32 v7, v7, v25, v14
	v_div_fixup_f32 v12, v30, v17, v21
	v_div_fmas_f32 v11, v11, v40, v31
	v_div_fixup_f32 v14, v22, v17, v18
	v_add_f32_e32 v15, v15, v13
	v_add_f32_e32 v4, v7, v4
	v_cmp_lt_f32_e32 vcc_lo, v9, v3
	v_div_fixup_f32 v6, v11, v17, v6
	v_add_f32_e32 v12, v12, v5
	v_add_f32_e32 v10, v10, v14
	v_mov_b32_e32 v11, v15
	v_cndmask_b32_e32 v9, v9, v3, vcc_lo
	v_add_f32_e32 v13, v6, v4
	v_mov_b32_e32 v7, v17
.LBB26_19:
	s_or_b32 exec_lo, exec_lo, s5
	s_waitcnt lgkmcnt(4)
	v_lshlrev_b32_e32 v3, 2, v1
	v_add_nc_u32_e32 v18, 16, v1
	s_mov_b32 s5, exec_lo
	s_waitcnt lgkmcnt(1)
	v_or_b32_e32 v5, 64, v3
	ds_bpermute_b32 v14, v5, v7
	ds_bpermute_b32 v16, v5, v8
	s_waitcnt lgkmcnt(2)
	ds_bpermute_b32 v4, v5, v9
	ds_bpermute_b32 v17, v5, v10
	;; [unrolled: 1-line block ×5, first 2 shown]
	v_cmpx_lt_u32_e64 v18, v2
	s_cbranch_execz .LBB26_21
; %bb.20:
	s_waitcnt lgkmcnt(3)
	v_sub_f32_e32 v2, v17, v10
	v_add_f32_e32 v17, v7, v14
	v_cmp_gt_f32_e32 vcc_lo, v8, v16
	v_sub_f32_e32 v20, v7, v14
	v_mul_f32_e32 v21, v11, v14
	v_mul_f32_e32 v18, v2, v14
	;; [unrolled: 1-line block ×3, first 2 shown]
	v_cndmask_b32_e32 v8, v8, v16, vcc_lo
	v_mul_f32_e32 v24, v7, v7
	v_mul_f32_e32 v28, 0x40400000, v2
	v_div_scale_f32 v22, null, v17, v17, v18
	v_mul_f32_e32 v23, v7, v19
	v_mul_f32_e32 v26, v2, v19
	v_div_scale_f32 v35, vcc_lo, v18, v17, v18
	v_rcp_f32_e32 v27, v22
	v_mul_f32_e32 v23, v23, v14
	v_mul_f32_e32 v29, v7, v26
	;; [unrolled: 1-line block ×3, first 2 shown]
	s_waitcnt lgkmcnt(2)
	v_fma_f32 v21, v7, v15, -v21
	v_fma_f32 v31, -v7, v14, v24
	v_div_scale_f32 v30, null, v17, v17, v23
	v_mul_f32_e32 v29, v29, v14
	v_mul_f32_e32 v26, v7, v26
	v_fma_f32 v33, -v22, v27, 1.0
	v_rcp_f32_e32 v34, v30
	v_mul_f32_e32 v25, v17, v17
	v_mul_f32_e32 v20, v20, v29
	;; [unrolled: 1-line block ×3, first 2 shown]
	v_fmac_f32_e32 v27, v33, v27
	v_fmac_f32_e32 v31, v14, v14
	v_mul_f32_e32 v26, v26, v14
	v_mul_f32_e32 v32, v17, v25
	v_div_scale_f32 v28, null, v25, v25, v20
	v_mul_f32_e32 v29, v35, v27
	v_fma_f32 v33, -v30, v34, 1.0
	v_mul_f32_e32 v26, v31, v26
	v_add_f32_e32 v16, v11, v15
	v_div_scale_f32 v36, s0, v23, v17, v23
	v_fma_f32 v38, -v22, v29, v35
	v_fmac_f32_e32 v34, v33, v34
	v_div_scale_f32 v33, null, v17, v17, v21
	v_rcp_f32_e32 v37, v28
	v_fmac_f32_e32 v29, v38, v27
	v_mul_f32_e32 v15, v24, v15
	v_rcp_f32_e32 v39, v33
	v_div_scale_f32 v24, null, v32, v32, v26
	v_fma_f32 v22, -v22, v29, v35
	v_mul_f32_e32 v38, v36, v34
	v_mul_f32_e32 v19, 0x40c00000, v19
	v_mul_f32_e32 v2, 4.0, v2
	v_fma_f32 v40, -v28, v37, 1.0
	v_div_fmas_f32 v22, v22, v27, v29
	v_mul_f32_e32 v27, v14, v14
	v_rcp_f32_e32 v29, v24
	v_mul_f32_e32 v14, v12, v14
	v_fma_f32 v35, -v30, v38, v36
	v_fmac_f32_e32 v37, v40, v37
	v_fmac_f32_e32 v15, v11, v27
	v_fma_f32 v27, -v33, v39, 1.0
	s_waitcnt lgkmcnt(1)
	v_fma_f32 v7, v7, v6, -v14
	v_fmac_f32_e32 v38, v35, v34
	v_div_scale_f32 v11, s1, v20, v25, v20
	v_mul_f32_e32 v15, v19, v15
	v_fmac_f32_e32 v39, v27, v39
	v_fma_f32 v35, -v24, v29, 1.0
	v_mul_f32_e32 v2, v2, v7
	v_fma_f32 v19, -v30, v38, v36
	v_div_scale_f32 v27, null, v25, v25, v15
	v_mul_f32_e32 v30, v11, v37
	v_div_scale_f32 v31, s2, v21, v17, v21
	v_rcp_f32_e32 v14, v27
	v_fmac_f32_e32 v29, v35, v29
	v_div_scale_f32 v35, null, v17, v17, v2
	s_mov_b32 vcc_lo, s0
	v_fma_f32 v7, -v28, v30, v11
	v_div_fmas_f32 v19, v19, v34, v38
	v_mul_f32_e32 v34, v31, v39
	v_div_scale_f32 v36, s0, v26, v32, v26
	v_rcp_f32_e32 v40, v35
	v_fma_f32 v38, -v27, v14, 1.0
	v_fmac_f32_e32 v30, v7, v37
	v_fma_f32 v7, -v33, v34, v31
	v_mul_f32_e32 v41, v36, v29
	v_add_f32_e32 v6, v12, v6
	v_fmac_f32_e32 v14, v38, v14
	v_div_scale_f32 v38, s3, v15, v25, v15
	v_fma_f32 v11, -v28, v30, v11
	v_fmac_f32_e32 v34, v7, v39
	v_fma_f32 v7, -v24, v41, v36
	v_fma_f32 v28, -v35, v40, 1.0
	v_mul_f32_e32 v12, v38, v14
	s_mov_b32 vcc_lo, s1
	s_waitcnt lgkmcnt(0)
	v_add_f32_e32 v5, v13, v5
	v_fmac_f32_e32 v41, v7, v29
	v_fmac_f32_e32 v40, v28, v40
	v_div_scale_f32 v28, s1, v2, v17, v2
	v_div_fmas_f32 v11, v11, v37, v30
	v_fma_f32 v30, -v33, v34, v31
	v_fma_f32 v7, -v27, v12, v38
	;; [unrolled: 1-line block ×3, first 2 shown]
	v_mul_f32_e32 v31, v28, v40
	s_mov_b32 vcc_lo, s2
	v_div_fixup_f32 v11, v11, v25, v20
	v_div_fmas_f32 v30, v30, v39, v34
	s_mov_b32 vcc_lo, s0
	v_fmac_f32_e32 v12, v7, v14
	v_div_fmas_f32 v7, v24, v29, v41
	v_fma_f32 v24, -v35, v31, v28
	s_mov_b32 vcc_lo, s3
	v_add_f32_e32 v6, v6, v11
	v_fma_f32 v13, -v27, v12, v38
	v_div_fixup_f32 v7, v7, v32, v26
	v_fmac_f32_e32 v31, v24, v40
	v_div_fmas_f32 v12, v13, v14, v12
	s_mov_b32 vcc_lo, s1
	v_fma_f32 v11, -v35, v31, v28
	v_div_fixup_f32 v13, v19, v17, v23
	v_add_f32_e32 v5, v5, v7
	v_div_fixup_f32 v7, v12, v25, v15
	v_div_fixup_f32 v12, v30, v17, v21
	v_div_fmas_f32 v11, v11, v40, v31
	v_div_fixup_f32 v14, v22, v17, v18
	v_add_f32_e32 v15, v16, v13
	v_add_f32_e32 v5, v7, v5
	v_cmp_lt_f32_e32 vcc_lo, v9, v4
	v_div_fixup_f32 v2, v11, v17, v2
	v_add_f32_e32 v12, v12, v6
	v_add_f32_e32 v10, v10, v14
	v_mov_b32_e32 v11, v15
	v_cndmask_b32_e32 v9, v9, v4, vcc_lo
	v_add_f32_e32 v13, v2, v5
	v_mov_b32_e32 v7, v17
.LBB26_21:
	s_or_b32 exec_lo, exec_lo, s5
	s_mov_b32 s0, exec_lo
	v_cmpx_eq_u32_e32 0, v1
	s_cbranch_execz .LBB26_23
; %bb.22:
	v_lshrrev_b32_e32 v2, 5, v0
	v_mul_u32_u24_e32 v2, 28, v2
	ds_write2_b32 v2, v7, v8 offset1:1
	ds_write2_b32 v2, v9, v10 offset0:2 offset1:3
	ds_write2_b32 v2, v11, v12 offset0:4 offset1:5
	ds_write_b32 v2, v13 offset:24
.LBB26_23:
	s_or_b32 exec_lo, exec_lo, s0
	s_mov_b32 s5, exec_lo
	s_waitcnt lgkmcnt(0)
	s_barrier
	buffer_gl0_inv
	v_cmpx_gt_u32_e32 8, v0
	s_cbranch_execz .LBB26_31
; %bb.24:
	v_mul_u32_u24_e32 v4, 28, v1
	v_and_b32_e32 v2, 7, v1
	s_add_i32 s4, s4, 31
	ds_read2_b32 v[7:8], v4 offset1:1
	ds_read2_b32 v[9:10], v4 offset0:2 offset1:3
	ds_read2_b32 v[11:12], v4 offset0:4 offset1:5
	ds_read_b32 v13, v4 offset:24
	v_cmp_ne_u32_e32 vcc_lo, 7, v2
	s_lshr_b32 s4, s4, 5
	v_add_co_ci_u32_e64 v4, null, 0, v1, vcc_lo
	v_lshlrev_b32_e32 v4, 2, v4
	s_waitcnt lgkmcnt(3)
	ds_bpermute_b32 v15, v4, v7
	ds_bpermute_b32 v19, v4, v8
	s_waitcnt lgkmcnt(4)
	ds_bpermute_b32 v5, v4, v9
	ds_bpermute_b32 v20, v4, v10
	;; [unrolled: 3-line block ×3, first 2 shown]
	s_waitcnt lgkmcnt(6)
	ds_bpermute_b32 v6, v4, v13
	v_add_nc_u32_e32 v4, 1, v2
	v_mov_b32_e32 v18, v12
	v_mov_b32_e32 v17, v11
	v_cmp_gt_u32_e32 vcc_lo, s4, v4
	v_mov_b32_e32 v4, v7
	s_and_saveexec_b32 s7, vcc_lo
	s_cbranch_execz .LBB26_26
; %bb.25:
	s_waitcnt lgkmcnt(3)
	v_sub_f32_e32 v17, v20, v10
	v_cmp_gt_f32_e32 vcc_lo, v8, v19
	v_add_f32_e32 v4, v7, v15
	v_sub_f32_e32 v21, v7, v15
	v_mul_f32_e32 v22, v11, v15
	v_mul_f32_e32 v20, v17, v17
	v_cndmask_b32_e32 v8, v8, v19, vcc_lo
	v_mul_f32_e32 v19, v17, v15
	v_mul_f32_e32 v25, v7, v7
	;; [unrolled: 1-line block ×5, first 2 shown]
	v_div_scale_f32 v23, null, v4, v4, v19
	v_div_scale_f32 v36, vcc_lo, v19, v4, v19
	v_mul_f32_e32 v24, v24, v15
	v_rcp_f32_e32 v28, v23
	v_mul_f32_e32 v30, v7, v27
	v_mul_f32_e32 v27, v17, v27
	s_waitcnt lgkmcnt(2)
	v_fma_f32 v22, v7, v16, -v22
	v_div_scale_f32 v31, null, v4, v4, v24
	v_mul_f32_e32 v30, v30, v15
	v_fma_f32 v32, -v7, v15, v25
	v_mul_f32_e32 v27, v7, v27
	v_rcp_f32_e32 v35, v31
	v_fma_f32 v34, -v23, v28, 1.0
	v_mul_f32_e32 v21, v21, v30
	v_mul_f32_e32 v26, v4, v4
	;; [unrolled: 1-line block ×3, first 2 shown]
	v_fmac_f32_e32 v32, v15, v15
	v_fmac_f32_e32 v28, v34, v28
	v_mul_f32_e32 v27, v27, v15
	v_mul_f32_e32 v33, v4, v26
	v_div_scale_f32 v29, null, v26, v26, v21
	v_mul_f32_e32 v30, v36, v28
	v_fma_f32 v34, -v31, v35, 1.0
	v_mul_f32_e32 v27, v32, v27
	v_add_f32_e32 v18, v11, v16
	v_div_scale_f32 v37, s0, v24, v4, v24
	v_fma_f32 v39, -v23, v30, v36
	v_fmac_f32_e32 v35, v34, v35
	v_div_scale_f32 v34, null, v4, v4, v22
	v_rcp_f32_e32 v38, v29
	v_fmac_f32_e32 v30, v39, v28
	v_mul_f32_e32 v16, v25, v16
	v_rcp_f32_e32 v40, v34
	v_div_scale_f32 v25, null, v33, v33, v27
	v_fma_f32 v23, -v23, v30, v36
	v_mul_f32_e32 v39, v37, v35
	v_mul_f32_e32 v20, 0x40c00000, v20
	v_mul_f32_e32 v17, 4.0, v17
	v_fma_f32 v41, -v29, v38, 1.0
	v_div_fmas_f32 v23, v23, v28, v30
	v_mul_f32_e32 v28, v15, v15
	v_rcp_f32_e32 v30, v25
	v_mul_f32_e32 v15, v12, v15
	v_fma_f32 v36, -v31, v39, v37
	v_fmac_f32_e32 v38, v41, v38
	v_fmac_f32_e32 v16, v11, v28
	v_fma_f32 v28, -v34, v40, 1.0
	s_waitcnt lgkmcnt(1)
	v_fma_f32 v7, v7, v14, -v15
	v_fmac_f32_e32 v39, v36, v35
	v_div_scale_f32 v11, s1, v21, v26, v21
	v_mul_f32_e32 v16, v20, v16
	v_fmac_f32_e32 v40, v28, v40
	v_fma_f32 v36, -v25, v30, 1.0
	v_mul_f32_e32 v7, v17, v7
	v_fma_f32 v20, -v31, v39, v37
	v_div_scale_f32 v28, null, v26, v26, v16
	v_mul_f32_e32 v31, v11, v38
	v_fmac_f32_e32 v30, v36, v30
	v_div_scale_f32 v36, null, v4, v4, v7
	v_rcp_f32_e32 v15, v28
	v_div_scale_f32 v32, s2, v22, v4, v22
	s_mov_b32 vcc_lo, s0
	v_fma_f32 v17, -v29, v31, v11
	v_div_scale_f32 v37, s0, v27, v33, v27
	v_rcp_f32_e32 v41, v36
	v_div_fmas_f32 v20, v20, v35, v39
	v_mul_f32_e32 v35, v32, v40
	v_fma_f32 v39, -v28, v15, 1.0
	v_fmac_f32_e32 v31, v17, v38
	v_mul_f32_e32 v42, v37, v30
	v_add_f32_e32 v12, v12, v14
	v_fma_f32 v17, -v34, v35, v32
	v_fmac_f32_e32 v15, v39, v15
	v_div_scale_f32 v39, s3, v16, v26, v16
	v_fma_f32 v11, -v29, v31, v11
	v_fma_f32 v14, -v25, v42, v37
	v_fma_f32 v29, -v36, v41, 1.0
	v_fmac_f32_e32 v35, v17, v40
	v_mul_f32_e32 v17, v39, v15
	s_mov_b32 vcc_lo, s1
	v_fmac_f32_e32 v42, v14, v30
	v_fmac_f32_e32 v41, v29, v41
	v_div_scale_f32 v29, s1, v7, v4, v7
	v_div_fmas_f32 v11, v11, v38, v31
	v_fma_f32 v31, -v34, v35, v32
	v_fma_f32 v14, -v28, v17, v39
	;; [unrolled: 1-line block ×3, first 2 shown]
	v_mul_f32_e32 v32, v29, v41
	s_mov_b32 vcc_lo, s2
	v_div_fixup_f32 v11, v11, v26, v21
	v_div_fmas_f32 v31, v31, v40, v35
	s_mov_b32 vcc_lo, s0
	v_fmac_f32_e32 v17, v14, v15
	v_div_fmas_f32 v14, v25, v30, v42
	v_fma_f32 v25, -v36, v32, v29
	s_waitcnt lgkmcnt(0)
	v_add_f32_e32 v6, v13, v6
	s_mov_b32 vcc_lo, s3
	v_fma_f32 v13, -v28, v17, v39
	v_div_fixup_f32 v14, v14, v33, v27
	v_fmac_f32_e32 v32, v25, v41
	v_add_f32_e32 v11, v12, v11
	v_div_fmas_f32 v13, v13, v15, v17
	s_mov_b32 vcc_lo, s1
	v_fma_f32 v12, -v36, v32, v29
	v_div_fixup_f32 v15, v20, v4, v24
	v_add_f32_e32 v6, v6, v14
	v_div_fixup_f32 v13, v13, v26, v16
	v_div_fixup_f32 v14, v31, v4, v22
	v_div_fmas_f32 v12, v12, v41, v32
	v_div_fixup_f32 v16, v23, v4, v19
	v_add_f32_e32 v17, v18, v15
	v_add_f32_e32 v6, v13, v6
	;; [unrolled: 1-line block ×3, first 2 shown]
	v_div_fixup_f32 v7, v12, v4, v7
	v_cmp_lt_f32_e32 vcc_lo, v9, v5
	v_add_f32_e32 v10, v10, v16
	v_mov_b32_e32 v11, v17
	v_mov_b32_e32 v12, v18
	v_add_f32_e32 v13, v7, v6
	v_cndmask_b32_e32 v9, v9, v5, vcc_lo
	v_mov_b32_e32 v7, v4
.LBB26_26:
	s_or_b32 exec_lo, exec_lo, s7
	v_cmp_gt_u32_e32 vcc_lo, 6, v2
	s_waitcnt lgkmcnt(3)
	v_add_nc_u32_e32 v20, 2, v2
	s_mov_b32 s7, exec_lo
	v_cndmask_b32_e64 v5, 0, 2, vcc_lo
	v_add_lshl_u32 v5, v5, v1, 2
	s_waitcnt lgkmcnt(1)
	ds_bpermute_b32 v14, v5, v4
	ds_bpermute_b32 v16, v5, v8
	;; [unrolled: 1-line block ×5, first 2 shown]
	s_waitcnt lgkmcnt(5)
	ds_bpermute_b32 v6, v5, v18
	ds_bpermute_b32 v5, v5, v13
	v_cmpx_gt_u32_e64 s4, v20
	s_cbranch_execz .LBB26_28
; %bb.27:
	s_waitcnt lgkmcnt(3)
	v_sub_f32_e32 v17, v19, v10
	v_add_f32_e32 v4, v7, v14
	v_cmp_gt_f32_e32 vcc_lo, v8, v16
	v_sub_f32_e32 v20, v7, v14
	v_mul_f32_e32 v21, v11, v14
	v_mul_f32_e32 v18, v17, v14
	;; [unrolled: 1-line block ×3, first 2 shown]
	v_cndmask_b32_e32 v8, v8, v16, vcc_lo
	v_mul_f32_e32 v24, v7, v7
	v_mul_f32_e32 v28, 0x40400000, v17
	v_div_scale_f32 v22, null, v4, v4, v18
	v_mul_f32_e32 v23, v7, v19
	v_mul_f32_e32 v26, v17, v19
	v_div_scale_f32 v35, vcc_lo, v18, v4, v18
	v_rcp_f32_e32 v27, v22
	v_mul_f32_e32 v23, v23, v14
	v_mul_f32_e32 v29, v7, v26
	;; [unrolled: 1-line block ×3, first 2 shown]
	s_waitcnt lgkmcnt(2)
	v_fma_f32 v21, v7, v15, -v21
	v_fma_f32 v31, -v7, v14, v24
	v_div_scale_f32 v30, null, v4, v4, v23
	v_mul_f32_e32 v29, v29, v14
	v_mul_f32_e32 v26, v7, v26
	v_fma_f32 v33, -v22, v27, 1.0
	v_rcp_f32_e32 v34, v30
	v_mul_f32_e32 v25, v4, v4
	v_mul_f32_e32 v20, v20, v29
	;; [unrolled: 1-line block ×3, first 2 shown]
	v_fmac_f32_e32 v27, v33, v27
	v_fmac_f32_e32 v31, v14, v14
	v_mul_f32_e32 v26, v26, v14
	v_mul_f32_e32 v32, v4, v25
	v_div_scale_f32 v28, null, v25, v25, v20
	v_mul_f32_e32 v29, v35, v27
	v_fma_f32 v33, -v30, v34, 1.0
	v_mul_f32_e32 v26, v31, v26
	v_add_f32_e32 v16, v11, v15
	v_div_scale_f32 v36, s0, v23, v4, v23
	v_fma_f32 v38, -v22, v29, v35
	v_fmac_f32_e32 v34, v33, v34
	v_div_scale_f32 v33, null, v4, v4, v21
	v_rcp_f32_e32 v37, v28
	v_fmac_f32_e32 v29, v38, v27
	v_mul_f32_e32 v15, v24, v15
	v_rcp_f32_e32 v39, v33
	v_div_scale_f32 v24, null, v32, v32, v26
	v_fma_f32 v22, -v22, v29, v35
	v_mul_f32_e32 v38, v36, v34
	v_mul_f32_e32 v19, 0x40c00000, v19
	v_mul_f32_e32 v17, 4.0, v17
	v_fma_f32 v40, -v28, v37, 1.0
	v_div_fmas_f32 v22, v22, v27, v29
	v_mul_f32_e32 v27, v14, v14
	v_rcp_f32_e32 v29, v24
	v_mul_f32_e32 v14, v12, v14
	v_fma_f32 v35, -v30, v38, v36
	v_fmac_f32_e32 v37, v40, v37
	v_fmac_f32_e32 v15, v11, v27
	v_fma_f32 v27, -v33, v39, 1.0
	s_waitcnt lgkmcnt(1)
	v_fma_f32 v7, v7, v6, -v14
	v_fmac_f32_e32 v38, v35, v34
	v_div_scale_f32 v11, s1, v20, v25, v20
	v_mul_f32_e32 v15, v19, v15
	v_fmac_f32_e32 v39, v27, v39
	v_fma_f32 v35, -v24, v29, 1.0
	v_mul_f32_e32 v7, v17, v7
	v_fma_f32 v19, -v30, v38, v36
	v_div_scale_f32 v27, null, v25, v25, v15
	v_mul_f32_e32 v30, v11, v37
	v_fmac_f32_e32 v29, v35, v29
	v_div_scale_f32 v35, null, v4, v4, v7
	v_rcp_f32_e32 v14, v27
	v_div_scale_f32 v31, s2, v21, v4, v21
	s_mov_b32 vcc_lo, s0
	v_fma_f32 v17, -v28, v30, v11
	v_div_scale_f32 v36, s0, v26, v32, v26
	v_rcp_f32_e32 v40, v35
	v_div_fmas_f32 v19, v19, v34, v38
	v_mul_f32_e32 v34, v31, v39
	v_fma_f32 v38, -v27, v14, 1.0
	v_fmac_f32_e32 v30, v17, v37
	v_mul_f32_e32 v41, v36, v29
	v_add_f32_e32 v6, v12, v6
	v_fma_f32 v17, -v33, v34, v31
	v_fmac_f32_e32 v14, v38, v14
	v_div_scale_f32 v38, s3, v15, v25, v15
	v_fma_f32 v11, -v28, v30, v11
	v_fma_f32 v12, -v24, v41, v36
	v_fma_f32 v28, -v35, v40, 1.0
	v_fmac_f32_e32 v34, v17, v39
	v_mul_f32_e32 v17, v38, v14
	s_mov_b32 vcc_lo, s1
	v_fmac_f32_e32 v41, v12, v29
	v_fmac_f32_e32 v40, v28, v40
	v_div_scale_f32 v28, s1, v7, v4, v7
	v_div_fmas_f32 v11, v11, v37, v30
	v_fma_f32 v30, -v33, v34, v31
	v_fma_f32 v12, -v27, v17, v38
	;; [unrolled: 1-line block ×3, first 2 shown]
	v_mul_f32_e32 v31, v28, v40
	s_mov_b32 vcc_lo, s2
	v_div_fixup_f32 v11, v11, v25, v20
	v_div_fmas_f32 v30, v30, v39, v34
	s_mov_b32 vcc_lo, s0
	v_fmac_f32_e32 v17, v12, v14
	v_div_fmas_f32 v12, v24, v29, v41
	v_fma_f32 v24, -v35, v31, v28
	s_waitcnt lgkmcnt(0)
	v_add_f32_e32 v5, v13, v5
	s_mov_b32 vcc_lo, s3
	v_fma_f32 v13, -v27, v17, v38
	v_div_fixup_f32 v12, v12, v32, v26
	v_fmac_f32_e32 v31, v24, v40
	v_add_f32_e32 v6, v6, v11
	v_div_fmas_f32 v13, v13, v14, v17
	s_mov_b32 vcc_lo, s1
	v_fma_f32 v11, -v35, v31, v28
	v_div_fixup_f32 v14, v19, v4, v23
	v_add_f32_e32 v5, v5, v12
	v_div_fixup_f32 v12, v13, v25, v15
	v_div_fixup_f32 v13, v30, v4, v21
	v_div_fmas_f32 v11, v11, v40, v31
	v_div_fixup_f32 v15, v22, v4, v18
	v_add_f32_e32 v17, v16, v14
	v_add_f32_e32 v5, v12, v5
	;; [unrolled: 1-line block ×3, first 2 shown]
	v_div_fixup_f32 v7, v11, v4, v7
	v_cmp_lt_f32_e32 vcc_lo, v9, v1
	v_add_f32_e32 v10, v10, v15
	v_mov_b32_e32 v11, v17
	v_mov_b32_e32 v12, v18
	v_add_f32_e32 v13, v7, v5
	v_cndmask_b32_e32 v9, v9, v1, vcc_lo
	v_mov_b32_e32 v7, v4
.LBB26_28:
	s_or_b32 exec_lo, exec_lo, s7
	s_waitcnt lgkmcnt(0)
	v_or_b32_e32 v5, 16, v3
	v_add_nc_u32_e32 v2, 4, v2
	s_mov_b32 s7, exec_lo
	ds_bpermute_b32 v6, v5, v4
	ds_bpermute_b32 v14, v5, v8
	;; [unrolled: 1-line block ×7, first 2 shown]
	v_cmpx_gt_u32_e64 s4, v2
	s_cbranch_execz .LBB26_30
; %bb.29:
	s_waitcnt lgkmcnt(3)
	v_sub_f32_e32 v2, v15, v10
	v_cmp_gt_f32_e32 vcc_lo, v8, v14
	v_add_f32_e32 v15, v7, v6
	v_sub_f32_e32 v16, v7, v6
	v_mul_f32_e32 v20, v7, v7
	v_mul_f32_e32 v18, v2, v2
	v_cndmask_b32_e32 v8, v8, v14, vcc_lo
	v_mul_f32_e32 v14, v2, v6
	v_mul_f32_e32 v17, v11, v6
	v_fma_f32 v27, -v7, v6, v20
	v_mul_f32_e32 v22, v7, v18
	v_mul_f32_e32 v23, v2, v18
	v_div_scale_f32 v19, null, v15, v15, v14
	v_div_scale_f32 v31, vcc_lo, v14, v15, v14
	v_mul_f32_e32 v22, v22, v6
	v_rcp_f32_e32 v24, v19
	v_mul_f32_e32 v26, v7, v23
	v_mul_f32_e32 v23, v2, v23
	;; [unrolled: 1-line block ×3, first 2 shown]
	v_div_scale_f32 v29, null, v15, v15, v22
	v_mul_f32_e32 v26, v26, v6
	v_mul_f32_e32 v23, v7, v23
	;; [unrolled: 1-line block ×3, first 2 shown]
	v_rcp_f32_e32 v32, v29
	v_fma_f32 v30, -v19, v24, 1.0
	v_mul_f32_e32 v16, v16, v26
	s_waitcnt lgkmcnt(2)
	v_fma_f32 v17, v7, v4, -v17
	v_div_scale_f32 v36, s0, v22, v15, v22
	v_fmac_f32_e32 v24, v30, v24
	v_fmac_f32_e32 v27, v6, v6
	v_mul_f32_e32 v23, v23, v6
	v_mul_f32_e32 v20, v20, v4
	v_fma_f32 v33, -v29, v32, 1.0
	v_mul_f32_e32 v26, v31, v24
	v_mul_f32_e32 v28, v15, v21
	;; [unrolled: 1-line block ×3, first 2 shown]
	v_div_scale_f32 v25, null, v21, v21, v16
	v_fma_f32 v35, -v19, v26, v31
	v_fmac_f32_e32 v32, v33, v32
	v_mul_f32_e32 v23, v27, v23
	v_mul_f32_e32 v18, 0x40c00000, v18
	v_div_scale_f32 v30, null, v15, v15, v17
	v_fmac_f32_e32 v26, v35, v24
	v_mul_f32_e32 v35, v36, v32
	v_rcp_f32_e32 v34, v25
	v_rcp_f32_e32 v33, v30
	v_mul_f32_e32 v2, 4.0, v2
	v_fma_f32 v19, -v19, v26, v31
	v_mul_f32_e32 v31, v6, v6
	v_mul_f32_e32 v6, v12, v6
	v_add_f32_e32 v4, v11, v4
	s_waitcnt lgkmcnt(0)
	v_add_f32_e32 v5, v13, v5
	v_div_fmas_f32 v19, v19, v24, v26
	v_fmac_f32_e32 v20, v11, v31
	v_div_scale_f32 v24, null, v28, v28, v23
	v_fma_f32 v26, -v29, v35, v36
	v_fma_f32 v37, -v25, v34, 1.0
	v_mul_f32_e32 v18, v18, v20
	v_rcp_f32_e32 v31, v24
	v_fma_f32 v6, v7, v3, -v6
	v_fmac_f32_e32 v35, v26, v32
	v_fmac_f32_e32 v34, v37, v34
	v_div_scale_f32 v26, null, v21, v21, v18
	v_div_fixup_f32 v14, v19, v15, v14
	v_div_scale_f32 v19, s1, v16, v21, v16
	v_rcp_f32_e32 v38, v26
	v_fma_f32 v27, -v30, v33, 1.0
	v_fma_f32 v37, -v24, v31, 1.0
	v_mul_f32_e32 v2, v2, v6
	v_mul_f32_e32 v20, v19, v34
	v_fma_f32 v7, -v29, v35, v36
	v_fmac_f32_e32 v33, v27, v33
	v_div_scale_f32 v27, s2, v17, v15, v17
	v_fmac_f32_e32 v31, v37, v31
	v_fma_f32 v37, -v26, v38, 1.0
	v_div_scale_f32 v39, null, v15, v15, v2
	v_fma_f32 v29, -v25, v20, v19
	v_mul_f32_e32 v36, v27, v33
	v_div_scale_f32 v6, s3, v23, v28, v23
	v_fmac_f32_e32 v38, v37, v38
	v_rcp_f32_e32 v37, v39
	v_fmac_f32_e32 v20, v29, v34
	v_fma_f32 v29, -v30, v36, v27
	v_mul_f32_e32 v40, v6, v31
	s_mov_b32 vcc_lo, s0
	v_div_scale_f32 v41, s4, v18, v21, v18
	v_div_fmas_f32 v7, v7, v32, v35
	v_fma_f32 v19, -v25, v20, v19
	v_fmac_f32_e32 v36, v29, v33
	v_fma_f32 v25, -v24, v40, v6
	v_fma_f32 v32, -v39, v37, 1.0
	s_mov_b32 vcc_lo, s1
	v_mul_f32_e32 v29, v41, v38
	v_div_fmas_f32 v19, v19, v34, v20
	v_fma_f32 v20, -v30, v36, v27
	v_fmac_f32_e32 v40, v25, v31
	v_fmac_f32_e32 v37, v32, v37
	v_div_scale_f32 v27, s0, v2, v15, v2
	v_fma_f32 v25, -v26, v29, v41
	v_fma_f32 v6, -v24, v40, v6
	s_mov_b32 vcc_lo, s2
	v_mul_f32_e32 v24, v27, v37
	v_div_fmas_f32 v20, v20, v33, v36
	v_fmac_f32_e32 v29, v25, v38
	s_mov_b32 vcc_lo, s3
	v_add_f32_e32 v3, v12, v3
	v_fma_f32 v25, -v39, v24, v27
	v_div_fmas_f32 v6, v6, v31, v40
	v_fma_f32 v11, -v26, v29, v41
	s_mov_b32 vcc_lo, s4
	v_div_fixup_f32 v12, v19, v21, v16
	v_fmac_f32_e32 v24, v25, v37
	v_div_fixup_f32 v6, v6, v28, v23
	v_div_fmas_f32 v11, v11, v38, v29
	s_mov_b32 vcc_lo, s0
	v_div_fixup_f32 v7, v7, v15, v22
	v_fma_f32 v13, -v39, v24, v27
	v_add_f32_e32 v5, v5, v6
	v_div_fixup_f32 v6, v11, v21, v18
	v_add_f32_e32 v3, v3, v12
	v_div_fixup_f32 v12, v20, v15, v17
	v_div_fmas_f32 v11, v13, v37, v24
	v_cmp_lt_f32_e32 vcc_lo, v9, v1
	v_add_f32_e32 v5, v6, v5
	v_add_f32_e32 v10, v10, v14
	;; [unrolled: 1-line block ×3, first 2 shown]
	v_div_fixup_f32 v2, v11, v15, v2
	v_cndmask_b32_e32 v9, v9, v1, vcc_lo
	v_add_f32_e32 v11, v4, v7
	v_mov_b32_e32 v7, v15
	v_add_f32_e32 v13, v2, v5
.LBB26_30:
	s_or_b32 exec_lo, exec_lo, s7
.LBB26_31:
	s_or_b32 exec_lo, exec_lo, s5
.LBB26_32:
	s_mov_b32 s0, exec_lo
	v_cmpx_eq_u32_e32 0, v0
	s_cbranch_execz .LBB26_36
; %bb.33:
	v_mov_b32_e32 v0, s16
	s_waitcnt lgkmcnt(4)
	v_mov_b32_e32 v1, s17
	v_mov_b32_e32 v2, s18
	s_waitcnt lgkmcnt(1)
	v_mov_b32_e32 v3, s19
	;; [unrolled: 3-line block ×3, first 2 shown]
	v_mov_b32_e32 v6, s22
	s_cmp_eq_u64 s[10:11], 0
	s_cbranch_scc1 .LBB26_35
; %bb.34:
	v_mov_b32_e32 v0, v7
	v_mov_b32_e32 v1, v8
	;; [unrolled: 1-line block ×7, first 2 shown]
.LBB26_35:
	s_mul_i32 s0, s24, s15
	s_mul_hi_u32 s1, s24, s14
	s_mul_i32 s2, s25, s14
	s_add_i32 s0, s1, s0
	s_mul_i32 s1, s24, s14
	s_add_i32 s0, s0, s2
	s_mul_hi_u32 s2, s1, 28
	s_mul_i32 s0, s0, 28
	s_mul_i32 s1, s1, 28
	s_add_i32 s2, s2, s0
	s_add_u32 s0, s12, s1
	s_addc_u32 s1, s13, s2
	s_mul_i32 s2, s6, 28
	v_mov_b32_e32 v7, 0
	s_mul_hi_u32 s3, s6, 28
	s_add_u32 s0, s0, s2
	s_addc_u32 s1, s1, s3
	global_store_dwordx4 v7, v[0:3], s[0:1]
	global_store_dwordx3 v7, v[4:6], s[0:1] offset:16
.LBB26_36:
	s_endpgm
	.section	.rodata,"a",@progbits
	.p2align	6, 0x0
	.amdhsa_kernel _ZN7rocprim17ROCPRIM_400000_NS6detail17trampoline_kernelINS0_14default_configENS1_22reduce_config_selectorI18summary_stats_dataIfEEEZNS1_11reduce_implILb1ES3_N6thrust23THRUST_200600_302600_NS11hip_rocprim26transform_input_iterator_tIS6_NSA_6detail15normal_iteratorINSA_10device_ptrIfEEEE22summary_stats_unary_opIfEEEPS6_S6_23summary_stats_binary_opIfEEE10hipError_tPvRmT1_T2_T3_mT4_P12ihipStream_tbEUlT_E0_NS1_11comp_targetILNS1_3genE8ELNS1_11target_archE1030ELNS1_3gpuE2ELNS1_3repE0EEENS1_30default_config_static_selectorELNS0_4arch9wavefront6targetE0EEEvSR_
		.amdhsa_group_segment_fixed_size 448
		.amdhsa_private_segment_fixed_size 0
		.amdhsa_kernarg_size 88
		.amdhsa_user_sgpr_count 6
		.amdhsa_user_sgpr_private_segment_buffer 1
		.amdhsa_user_sgpr_dispatch_ptr 0
		.amdhsa_user_sgpr_queue_ptr 0
		.amdhsa_user_sgpr_kernarg_segment_ptr 1
		.amdhsa_user_sgpr_dispatch_id 0
		.amdhsa_user_sgpr_flat_scratch_init 0
		.amdhsa_user_sgpr_private_segment_size 0
		.amdhsa_wavefront_size32 1
		.amdhsa_uses_dynamic_stack 0
		.amdhsa_system_sgpr_private_segment_wavefront_offset 0
		.amdhsa_system_sgpr_workgroup_id_x 1
		.amdhsa_system_sgpr_workgroup_id_y 0
		.amdhsa_system_sgpr_workgroup_id_z 0
		.amdhsa_system_sgpr_workgroup_info 0
		.amdhsa_system_vgpr_workitem_id 0
		.amdhsa_next_free_vgpr 63
		.amdhsa_next_free_sgpr 28
		.amdhsa_reserve_vcc 1
		.amdhsa_reserve_flat_scratch 1
		.amdhsa_float_round_mode_32 0
		.amdhsa_float_round_mode_16_64 0
		.amdhsa_float_denorm_mode_32 3
		.amdhsa_float_denorm_mode_16_64 3
		.amdhsa_dx10_clamp 1
		.amdhsa_ieee_mode 1
		.amdhsa_fp16_overflow 0
		.amdhsa_workgroup_processor_mode 1
		.amdhsa_memory_ordered 1
		.amdhsa_forward_progress 1
		.amdhsa_shared_vgpr_count 0
		.amdhsa_exception_fp_ieee_invalid_op 0
		.amdhsa_exception_fp_denorm_src 0
		.amdhsa_exception_fp_ieee_div_zero 0
		.amdhsa_exception_fp_ieee_overflow 0
		.amdhsa_exception_fp_ieee_underflow 0
		.amdhsa_exception_fp_ieee_inexact 0
		.amdhsa_exception_int_div_zero 0
	.end_amdhsa_kernel
	.section	.text._ZN7rocprim17ROCPRIM_400000_NS6detail17trampoline_kernelINS0_14default_configENS1_22reduce_config_selectorI18summary_stats_dataIfEEEZNS1_11reduce_implILb1ES3_N6thrust23THRUST_200600_302600_NS11hip_rocprim26transform_input_iterator_tIS6_NSA_6detail15normal_iteratorINSA_10device_ptrIfEEEE22summary_stats_unary_opIfEEEPS6_S6_23summary_stats_binary_opIfEEE10hipError_tPvRmT1_T2_T3_mT4_P12ihipStream_tbEUlT_E0_NS1_11comp_targetILNS1_3genE8ELNS1_11target_archE1030ELNS1_3gpuE2ELNS1_3repE0EEENS1_30default_config_static_selectorELNS0_4arch9wavefront6targetE0EEEvSR_,"axG",@progbits,_ZN7rocprim17ROCPRIM_400000_NS6detail17trampoline_kernelINS0_14default_configENS1_22reduce_config_selectorI18summary_stats_dataIfEEEZNS1_11reduce_implILb1ES3_N6thrust23THRUST_200600_302600_NS11hip_rocprim26transform_input_iterator_tIS6_NSA_6detail15normal_iteratorINSA_10device_ptrIfEEEE22summary_stats_unary_opIfEEEPS6_S6_23summary_stats_binary_opIfEEE10hipError_tPvRmT1_T2_T3_mT4_P12ihipStream_tbEUlT_E0_NS1_11comp_targetILNS1_3genE8ELNS1_11target_archE1030ELNS1_3gpuE2ELNS1_3repE0EEENS1_30default_config_static_selectorELNS0_4arch9wavefront6targetE0EEEvSR_,comdat
.Lfunc_end26:
	.size	_ZN7rocprim17ROCPRIM_400000_NS6detail17trampoline_kernelINS0_14default_configENS1_22reduce_config_selectorI18summary_stats_dataIfEEEZNS1_11reduce_implILb1ES3_N6thrust23THRUST_200600_302600_NS11hip_rocprim26transform_input_iterator_tIS6_NSA_6detail15normal_iteratorINSA_10device_ptrIfEEEE22summary_stats_unary_opIfEEEPS6_S6_23summary_stats_binary_opIfEEE10hipError_tPvRmT1_T2_T3_mT4_P12ihipStream_tbEUlT_E0_NS1_11comp_targetILNS1_3genE8ELNS1_11target_archE1030ELNS1_3gpuE2ELNS1_3repE0EEENS1_30default_config_static_selectorELNS0_4arch9wavefront6targetE0EEEvSR_, .Lfunc_end26-_ZN7rocprim17ROCPRIM_400000_NS6detail17trampoline_kernelINS0_14default_configENS1_22reduce_config_selectorI18summary_stats_dataIfEEEZNS1_11reduce_implILb1ES3_N6thrust23THRUST_200600_302600_NS11hip_rocprim26transform_input_iterator_tIS6_NSA_6detail15normal_iteratorINSA_10device_ptrIfEEEE22summary_stats_unary_opIfEEEPS6_S6_23summary_stats_binary_opIfEEE10hipError_tPvRmT1_T2_T3_mT4_P12ihipStream_tbEUlT_E0_NS1_11comp_targetILNS1_3genE8ELNS1_11target_archE1030ELNS1_3gpuE2ELNS1_3repE0EEENS1_30default_config_static_selectorELNS0_4arch9wavefront6targetE0EEEvSR_
                                        ; -- End function
	.set _ZN7rocprim17ROCPRIM_400000_NS6detail17trampoline_kernelINS0_14default_configENS1_22reduce_config_selectorI18summary_stats_dataIfEEEZNS1_11reduce_implILb1ES3_N6thrust23THRUST_200600_302600_NS11hip_rocprim26transform_input_iterator_tIS6_NSA_6detail15normal_iteratorINSA_10device_ptrIfEEEE22summary_stats_unary_opIfEEEPS6_S6_23summary_stats_binary_opIfEEE10hipError_tPvRmT1_T2_T3_mT4_P12ihipStream_tbEUlT_E0_NS1_11comp_targetILNS1_3genE8ELNS1_11target_archE1030ELNS1_3gpuE2ELNS1_3repE0EEENS1_30default_config_static_selectorELNS0_4arch9wavefront6targetE0EEEvSR_.num_vgpr, 63
	.set _ZN7rocprim17ROCPRIM_400000_NS6detail17trampoline_kernelINS0_14default_configENS1_22reduce_config_selectorI18summary_stats_dataIfEEEZNS1_11reduce_implILb1ES3_N6thrust23THRUST_200600_302600_NS11hip_rocprim26transform_input_iterator_tIS6_NSA_6detail15normal_iteratorINSA_10device_ptrIfEEEE22summary_stats_unary_opIfEEEPS6_S6_23summary_stats_binary_opIfEEE10hipError_tPvRmT1_T2_T3_mT4_P12ihipStream_tbEUlT_E0_NS1_11comp_targetILNS1_3genE8ELNS1_11target_archE1030ELNS1_3gpuE2ELNS1_3repE0EEENS1_30default_config_static_selectorELNS0_4arch9wavefront6targetE0EEEvSR_.num_agpr, 0
	.set _ZN7rocprim17ROCPRIM_400000_NS6detail17trampoline_kernelINS0_14default_configENS1_22reduce_config_selectorI18summary_stats_dataIfEEEZNS1_11reduce_implILb1ES3_N6thrust23THRUST_200600_302600_NS11hip_rocprim26transform_input_iterator_tIS6_NSA_6detail15normal_iteratorINSA_10device_ptrIfEEEE22summary_stats_unary_opIfEEEPS6_S6_23summary_stats_binary_opIfEEE10hipError_tPvRmT1_T2_T3_mT4_P12ihipStream_tbEUlT_E0_NS1_11comp_targetILNS1_3genE8ELNS1_11target_archE1030ELNS1_3gpuE2ELNS1_3repE0EEENS1_30default_config_static_selectorELNS0_4arch9wavefront6targetE0EEEvSR_.numbered_sgpr, 28
	.set _ZN7rocprim17ROCPRIM_400000_NS6detail17trampoline_kernelINS0_14default_configENS1_22reduce_config_selectorI18summary_stats_dataIfEEEZNS1_11reduce_implILb1ES3_N6thrust23THRUST_200600_302600_NS11hip_rocprim26transform_input_iterator_tIS6_NSA_6detail15normal_iteratorINSA_10device_ptrIfEEEE22summary_stats_unary_opIfEEEPS6_S6_23summary_stats_binary_opIfEEE10hipError_tPvRmT1_T2_T3_mT4_P12ihipStream_tbEUlT_E0_NS1_11comp_targetILNS1_3genE8ELNS1_11target_archE1030ELNS1_3gpuE2ELNS1_3repE0EEENS1_30default_config_static_selectorELNS0_4arch9wavefront6targetE0EEEvSR_.num_named_barrier, 0
	.set _ZN7rocprim17ROCPRIM_400000_NS6detail17trampoline_kernelINS0_14default_configENS1_22reduce_config_selectorI18summary_stats_dataIfEEEZNS1_11reduce_implILb1ES3_N6thrust23THRUST_200600_302600_NS11hip_rocprim26transform_input_iterator_tIS6_NSA_6detail15normal_iteratorINSA_10device_ptrIfEEEE22summary_stats_unary_opIfEEEPS6_S6_23summary_stats_binary_opIfEEE10hipError_tPvRmT1_T2_T3_mT4_P12ihipStream_tbEUlT_E0_NS1_11comp_targetILNS1_3genE8ELNS1_11target_archE1030ELNS1_3gpuE2ELNS1_3repE0EEENS1_30default_config_static_selectorELNS0_4arch9wavefront6targetE0EEEvSR_.private_seg_size, 0
	.set _ZN7rocprim17ROCPRIM_400000_NS6detail17trampoline_kernelINS0_14default_configENS1_22reduce_config_selectorI18summary_stats_dataIfEEEZNS1_11reduce_implILb1ES3_N6thrust23THRUST_200600_302600_NS11hip_rocprim26transform_input_iterator_tIS6_NSA_6detail15normal_iteratorINSA_10device_ptrIfEEEE22summary_stats_unary_opIfEEEPS6_S6_23summary_stats_binary_opIfEEE10hipError_tPvRmT1_T2_T3_mT4_P12ihipStream_tbEUlT_E0_NS1_11comp_targetILNS1_3genE8ELNS1_11target_archE1030ELNS1_3gpuE2ELNS1_3repE0EEENS1_30default_config_static_selectorELNS0_4arch9wavefront6targetE0EEEvSR_.uses_vcc, 1
	.set _ZN7rocprim17ROCPRIM_400000_NS6detail17trampoline_kernelINS0_14default_configENS1_22reduce_config_selectorI18summary_stats_dataIfEEEZNS1_11reduce_implILb1ES3_N6thrust23THRUST_200600_302600_NS11hip_rocprim26transform_input_iterator_tIS6_NSA_6detail15normal_iteratorINSA_10device_ptrIfEEEE22summary_stats_unary_opIfEEEPS6_S6_23summary_stats_binary_opIfEEE10hipError_tPvRmT1_T2_T3_mT4_P12ihipStream_tbEUlT_E0_NS1_11comp_targetILNS1_3genE8ELNS1_11target_archE1030ELNS1_3gpuE2ELNS1_3repE0EEENS1_30default_config_static_selectorELNS0_4arch9wavefront6targetE0EEEvSR_.uses_flat_scratch, 1
	.set _ZN7rocprim17ROCPRIM_400000_NS6detail17trampoline_kernelINS0_14default_configENS1_22reduce_config_selectorI18summary_stats_dataIfEEEZNS1_11reduce_implILb1ES3_N6thrust23THRUST_200600_302600_NS11hip_rocprim26transform_input_iterator_tIS6_NSA_6detail15normal_iteratorINSA_10device_ptrIfEEEE22summary_stats_unary_opIfEEEPS6_S6_23summary_stats_binary_opIfEEE10hipError_tPvRmT1_T2_T3_mT4_P12ihipStream_tbEUlT_E0_NS1_11comp_targetILNS1_3genE8ELNS1_11target_archE1030ELNS1_3gpuE2ELNS1_3repE0EEENS1_30default_config_static_selectorELNS0_4arch9wavefront6targetE0EEEvSR_.has_dyn_sized_stack, 0
	.set _ZN7rocprim17ROCPRIM_400000_NS6detail17trampoline_kernelINS0_14default_configENS1_22reduce_config_selectorI18summary_stats_dataIfEEEZNS1_11reduce_implILb1ES3_N6thrust23THRUST_200600_302600_NS11hip_rocprim26transform_input_iterator_tIS6_NSA_6detail15normal_iteratorINSA_10device_ptrIfEEEE22summary_stats_unary_opIfEEEPS6_S6_23summary_stats_binary_opIfEEE10hipError_tPvRmT1_T2_T3_mT4_P12ihipStream_tbEUlT_E0_NS1_11comp_targetILNS1_3genE8ELNS1_11target_archE1030ELNS1_3gpuE2ELNS1_3repE0EEENS1_30default_config_static_selectorELNS0_4arch9wavefront6targetE0EEEvSR_.has_recursion, 0
	.set _ZN7rocprim17ROCPRIM_400000_NS6detail17trampoline_kernelINS0_14default_configENS1_22reduce_config_selectorI18summary_stats_dataIfEEEZNS1_11reduce_implILb1ES3_N6thrust23THRUST_200600_302600_NS11hip_rocprim26transform_input_iterator_tIS6_NSA_6detail15normal_iteratorINSA_10device_ptrIfEEEE22summary_stats_unary_opIfEEEPS6_S6_23summary_stats_binary_opIfEEE10hipError_tPvRmT1_T2_T3_mT4_P12ihipStream_tbEUlT_E0_NS1_11comp_targetILNS1_3genE8ELNS1_11target_archE1030ELNS1_3gpuE2ELNS1_3repE0EEENS1_30default_config_static_selectorELNS0_4arch9wavefront6targetE0EEEvSR_.has_indirect_call, 0
	.section	.AMDGPU.csdata,"",@progbits
; Kernel info:
; codeLenInByte = 14488
; TotalNumSgprs: 30
; NumVgprs: 63
; ScratchSize: 0
; MemoryBound: 0
; FloatMode: 240
; IeeeMode: 1
; LDSByteSize: 448 bytes/workgroup (compile time only)
; SGPRBlocks: 0
; VGPRBlocks: 7
; NumSGPRsForWavesPerEU: 30
; NumVGPRsForWavesPerEU: 63
; Occupancy: 16
; WaveLimiterHint : 1
; COMPUTE_PGM_RSRC2:SCRATCH_EN: 0
; COMPUTE_PGM_RSRC2:USER_SGPR: 6
; COMPUTE_PGM_RSRC2:TRAP_HANDLER: 0
; COMPUTE_PGM_RSRC2:TGID_X_EN: 1
; COMPUTE_PGM_RSRC2:TGID_Y_EN: 0
; COMPUTE_PGM_RSRC2:TGID_Z_EN: 0
; COMPUTE_PGM_RSRC2:TIDIG_COMP_CNT: 0
	.section	.text._ZN7rocprim17ROCPRIM_400000_NS6detail17trampoline_kernelINS0_14default_configENS1_22reduce_config_selectorI18summary_stats_dataIfEEEZNS1_11reduce_implILb1ES3_N6thrust23THRUST_200600_302600_NS11hip_rocprim26transform_input_iterator_tIS6_NSA_6detail15normal_iteratorINSA_10device_ptrIfEEEE22summary_stats_unary_opIfEEEPS6_S6_23summary_stats_binary_opIfEEE10hipError_tPvRmT1_T2_T3_mT4_P12ihipStream_tbEUlT_E1_NS1_11comp_targetILNS1_3genE0ELNS1_11target_archE4294967295ELNS1_3gpuE0ELNS1_3repE0EEENS1_30default_config_static_selectorELNS0_4arch9wavefront6targetE0EEEvSR_,"axG",@progbits,_ZN7rocprim17ROCPRIM_400000_NS6detail17trampoline_kernelINS0_14default_configENS1_22reduce_config_selectorI18summary_stats_dataIfEEEZNS1_11reduce_implILb1ES3_N6thrust23THRUST_200600_302600_NS11hip_rocprim26transform_input_iterator_tIS6_NSA_6detail15normal_iteratorINSA_10device_ptrIfEEEE22summary_stats_unary_opIfEEEPS6_S6_23summary_stats_binary_opIfEEE10hipError_tPvRmT1_T2_T3_mT4_P12ihipStream_tbEUlT_E1_NS1_11comp_targetILNS1_3genE0ELNS1_11target_archE4294967295ELNS1_3gpuE0ELNS1_3repE0EEENS1_30default_config_static_selectorELNS0_4arch9wavefront6targetE0EEEvSR_,comdat
	.protected	_ZN7rocprim17ROCPRIM_400000_NS6detail17trampoline_kernelINS0_14default_configENS1_22reduce_config_selectorI18summary_stats_dataIfEEEZNS1_11reduce_implILb1ES3_N6thrust23THRUST_200600_302600_NS11hip_rocprim26transform_input_iterator_tIS6_NSA_6detail15normal_iteratorINSA_10device_ptrIfEEEE22summary_stats_unary_opIfEEEPS6_S6_23summary_stats_binary_opIfEEE10hipError_tPvRmT1_T2_T3_mT4_P12ihipStream_tbEUlT_E1_NS1_11comp_targetILNS1_3genE0ELNS1_11target_archE4294967295ELNS1_3gpuE0ELNS1_3repE0EEENS1_30default_config_static_selectorELNS0_4arch9wavefront6targetE0EEEvSR_ ; -- Begin function _ZN7rocprim17ROCPRIM_400000_NS6detail17trampoline_kernelINS0_14default_configENS1_22reduce_config_selectorI18summary_stats_dataIfEEEZNS1_11reduce_implILb1ES3_N6thrust23THRUST_200600_302600_NS11hip_rocprim26transform_input_iterator_tIS6_NSA_6detail15normal_iteratorINSA_10device_ptrIfEEEE22summary_stats_unary_opIfEEEPS6_S6_23summary_stats_binary_opIfEEE10hipError_tPvRmT1_T2_T3_mT4_P12ihipStream_tbEUlT_E1_NS1_11comp_targetILNS1_3genE0ELNS1_11target_archE4294967295ELNS1_3gpuE0ELNS1_3repE0EEENS1_30default_config_static_selectorELNS0_4arch9wavefront6targetE0EEEvSR_
	.globl	_ZN7rocprim17ROCPRIM_400000_NS6detail17trampoline_kernelINS0_14default_configENS1_22reduce_config_selectorI18summary_stats_dataIfEEEZNS1_11reduce_implILb1ES3_N6thrust23THRUST_200600_302600_NS11hip_rocprim26transform_input_iterator_tIS6_NSA_6detail15normal_iteratorINSA_10device_ptrIfEEEE22summary_stats_unary_opIfEEEPS6_S6_23summary_stats_binary_opIfEEE10hipError_tPvRmT1_T2_T3_mT4_P12ihipStream_tbEUlT_E1_NS1_11comp_targetILNS1_3genE0ELNS1_11target_archE4294967295ELNS1_3gpuE0ELNS1_3repE0EEENS1_30default_config_static_selectorELNS0_4arch9wavefront6targetE0EEEvSR_
	.p2align	8
	.type	_ZN7rocprim17ROCPRIM_400000_NS6detail17trampoline_kernelINS0_14default_configENS1_22reduce_config_selectorI18summary_stats_dataIfEEEZNS1_11reduce_implILb1ES3_N6thrust23THRUST_200600_302600_NS11hip_rocprim26transform_input_iterator_tIS6_NSA_6detail15normal_iteratorINSA_10device_ptrIfEEEE22summary_stats_unary_opIfEEEPS6_S6_23summary_stats_binary_opIfEEE10hipError_tPvRmT1_T2_T3_mT4_P12ihipStream_tbEUlT_E1_NS1_11comp_targetILNS1_3genE0ELNS1_11target_archE4294967295ELNS1_3gpuE0ELNS1_3repE0EEENS1_30default_config_static_selectorELNS0_4arch9wavefront6targetE0EEEvSR_,@function
_ZN7rocprim17ROCPRIM_400000_NS6detail17trampoline_kernelINS0_14default_configENS1_22reduce_config_selectorI18summary_stats_dataIfEEEZNS1_11reduce_implILb1ES3_N6thrust23THRUST_200600_302600_NS11hip_rocprim26transform_input_iterator_tIS6_NSA_6detail15normal_iteratorINSA_10device_ptrIfEEEE22summary_stats_unary_opIfEEEPS6_S6_23summary_stats_binary_opIfEEE10hipError_tPvRmT1_T2_T3_mT4_P12ihipStream_tbEUlT_E1_NS1_11comp_targetILNS1_3genE0ELNS1_11target_archE4294967295ELNS1_3gpuE0ELNS1_3repE0EEENS1_30default_config_static_selectorELNS0_4arch9wavefront6targetE0EEEvSR_: ; @_ZN7rocprim17ROCPRIM_400000_NS6detail17trampoline_kernelINS0_14default_configENS1_22reduce_config_selectorI18summary_stats_dataIfEEEZNS1_11reduce_implILb1ES3_N6thrust23THRUST_200600_302600_NS11hip_rocprim26transform_input_iterator_tIS6_NSA_6detail15normal_iteratorINSA_10device_ptrIfEEEE22summary_stats_unary_opIfEEEPS6_S6_23summary_stats_binary_opIfEEE10hipError_tPvRmT1_T2_T3_mT4_P12ihipStream_tbEUlT_E1_NS1_11comp_targetILNS1_3genE0ELNS1_11target_archE4294967295ELNS1_3gpuE0ELNS1_3repE0EEENS1_30default_config_static_selectorELNS0_4arch9wavefront6targetE0EEEvSR_
; %bb.0:
	.section	.rodata,"a",@progbits
	.p2align	6, 0x0
	.amdhsa_kernel _ZN7rocprim17ROCPRIM_400000_NS6detail17trampoline_kernelINS0_14default_configENS1_22reduce_config_selectorI18summary_stats_dataIfEEEZNS1_11reduce_implILb1ES3_N6thrust23THRUST_200600_302600_NS11hip_rocprim26transform_input_iterator_tIS6_NSA_6detail15normal_iteratorINSA_10device_ptrIfEEEE22summary_stats_unary_opIfEEEPS6_S6_23summary_stats_binary_opIfEEE10hipError_tPvRmT1_T2_T3_mT4_P12ihipStream_tbEUlT_E1_NS1_11comp_targetILNS1_3genE0ELNS1_11target_archE4294967295ELNS1_3gpuE0ELNS1_3repE0EEENS1_30default_config_static_selectorELNS0_4arch9wavefront6targetE0EEEvSR_
		.amdhsa_group_segment_fixed_size 0
		.amdhsa_private_segment_fixed_size 0
		.amdhsa_kernarg_size 72
		.amdhsa_user_sgpr_count 6
		.amdhsa_user_sgpr_private_segment_buffer 1
		.amdhsa_user_sgpr_dispatch_ptr 0
		.amdhsa_user_sgpr_queue_ptr 0
		.amdhsa_user_sgpr_kernarg_segment_ptr 1
		.amdhsa_user_sgpr_dispatch_id 0
		.amdhsa_user_sgpr_flat_scratch_init 0
		.amdhsa_user_sgpr_private_segment_size 0
		.amdhsa_wavefront_size32 1
		.amdhsa_uses_dynamic_stack 0
		.amdhsa_system_sgpr_private_segment_wavefront_offset 0
		.amdhsa_system_sgpr_workgroup_id_x 1
		.amdhsa_system_sgpr_workgroup_id_y 0
		.amdhsa_system_sgpr_workgroup_id_z 0
		.amdhsa_system_sgpr_workgroup_info 0
		.amdhsa_system_vgpr_workitem_id 0
		.amdhsa_next_free_vgpr 1
		.amdhsa_next_free_sgpr 1
		.amdhsa_reserve_vcc 0
		.amdhsa_reserve_flat_scratch 0
		.amdhsa_float_round_mode_32 0
		.amdhsa_float_round_mode_16_64 0
		.amdhsa_float_denorm_mode_32 3
		.amdhsa_float_denorm_mode_16_64 3
		.amdhsa_dx10_clamp 1
		.amdhsa_ieee_mode 1
		.amdhsa_fp16_overflow 0
		.amdhsa_workgroup_processor_mode 1
		.amdhsa_memory_ordered 1
		.amdhsa_forward_progress 1
		.amdhsa_shared_vgpr_count 0
		.amdhsa_exception_fp_ieee_invalid_op 0
		.amdhsa_exception_fp_denorm_src 0
		.amdhsa_exception_fp_ieee_div_zero 0
		.amdhsa_exception_fp_ieee_overflow 0
		.amdhsa_exception_fp_ieee_underflow 0
		.amdhsa_exception_fp_ieee_inexact 0
		.amdhsa_exception_int_div_zero 0
	.end_amdhsa_kernel
	.section	.text._ZN7rocprim17ROCPRIM_400000_NS6detail17trampoline_kernelINS0_14default_configENS1_22reduce_config_selectorI18summary_stats_dataIfEEEZNS1_11reduce_implILb1ES3_N6thrust23THRUST_200600_302600_NS11hip_rocprim26transform_input_iterator_tIS6_NSA_6detail15normal_iteratorINSA_10device_ptrIfEEEE22summary_stats_unary_opIfEEEPS6_S6_23summary_stats_binary_opIfEEE10hipError_tPvRmT1_T2_T3_mT4_P12ihipStream_tbEUlT_E1_NS1_11comp_targetILNS1_3genE0ELNS1_11target_archE4294967295ELNS1_3gpuE0ELNS1_3repE0EEENS1_30default_config_static_selectorELNS0_4arch9wavefront6targetE0EEEvSR_,"axG",@progbits,_ZN7rocprim17ROCPRIM_400000_NS6detail17trampoline_kernelINS0_14default_configENS1_22reduce_config_selectorI18summary_stats_dataIfEEEZNS1_11reduce_implILb1ES3_N6thrust23THRUST_200600_302600_NS11hip_rocprim26transform_input_iterator_tIS6_NSA_6detail15normal_iteratorINSA_10device_ptrIfEEEE22summary_stats_unary_opIfEEEPS6_S6_23summary_stats_binary_opIfEEE10hipError_tPvRmT1_T2_T3_mT4_P12ihipStream_tbEUlT_E1_NS1_11comp_targetILNS1_3genE0ELNS1_11target_archE4294967295ELNS1_3gpuE0ELNS1_3repE0EEENS1_30default_config_static_selectorELNS0_4arch9wavefront6targetE0EEEvSR_,comdat
.Lfunc_end27:
	.size	_ZN7rocprim17ROCPRIM_400000_NS6detail17trampoline_kernelINS0_14default_configENS1_22reduce_config_selectorI18summary_stats_dataIfEEEZNS1_11reduce_implILb1ES3_N6thrust23THRUST_200600_302600_NS11hip_rocprim26transform_input_iterator_tIS6_NSA_6detail15normal_iteratorINSA_10device_ptrIfEEEE22summary_stats_unary_opIfEEEPS6_S6_23summary_stats_binary_opIfEEE10hipError_tPvRmT1_T2_T3_mT4_P12ihipStream_tbEUlT_E1_NS1_11comp_targetILNS1_3genE0ELNS1_11target_archE4294967295ELNS1_3gpuE0ELNS1_3repE0EEENS1_30default_config_static_selectorELNS0_4arch9wavefront6targetE0EEEvSR_, .Lfunc_end27-_ZN7rocprim17ROCPRIM_400000_NS6detail17trampoline_kernelINS0_14default_configENS1_22reduce_config_selectorI18summary_stats_dataIfEEEZNS1_11reduce_implILb1ES3_N6thrust23THRUST_200600_302600_NS11hip_rocprim26transform_input_iterator_tIS6_NSA_6detail15normal_iteratorINSA_10device_ptrIfEEEE22summary_stats_unary_opIfEEEPS6_S6_23summary_stats_binary_opIfEEE10hipError_tPvRmT1_T2_T3_mT4_P12ihipStream_tbEUlT_E1_NS1_11comp_targetILNS1_3genE0ELNS1_11target_archE4294967295ELNS1_3gpuE0ELNS1_3repE0EEENS1_30default_config_static_selectorELNS0_4arch9wavefront6targetE0EEEvSR_
                                        ; -- End function
	.set _ZN7rocprim17ROCPRIM_400000_NS6detail17trampoline_kernelINS0_14default_configENS1_22reduce_config_selectorI18summary_stats_dataIfEEEZNS1_11reduce_implILb1ES3_N6thrust23THRUST_200600_302600_NS11hip_rocprim26transform_input_iterator_tIS6_NSA_6detail15normal_iteratorINSA_10device_ptrIfEEEE22summary_stats_unary_opIfEEEPS6_S6_23summary_stats_binary_opIfEEE10hipError_tPvRmT1_T2_T3_mT4_P12ihipStream_tbEUlT_E1_NS1_11comp_targetILNS1_3genE0ELNS1_11target_archE4294967295ELNS1_3gpuE0ELNS1_3repE0EEENS1_30default_config_static_selectorELNS0_4arch9wavefront6targetE0EEEvSR_.num_vgpr, 0
	.set _ZN7rocprim17ROCPRIM_400000_NS6detail17trampoline_kernelINS0_14default_configENS1_22reduce_config_selectorI18summary_stats_dataIfEEEZNS1_11reduce_implILb1ES3_N6thrust23THRUST_200600_302600_NS11hip_rocprim26transform_input_iterator_tIS6_NSA_6detail15normal_iteratorINSA_10device_ptrIfEEEE22summary_stats_unary_opIfEEEPS6_S6_23summary_stats_binary_opIfEEE10hipError_tPvRmT1_T2_T3_mT4_P12ihipStream_tbEUlT_E1_NS1_11comp_targetILNS1_3genE0ELNS1_11target_archE4294967295ELNS1_3gpuE0ELNS1_3repE0EEENS1_30default_config_static_selectorELNS0_4arch9wavefront6targetE0EEEvSR_.num_agpr, 0
	.set _ZN7rocprim17ROCPRIM_400000_NS6detail17trampoline_kernelINS0_14default_configENS1_22reduce_config_selectorI18summary_stats_dataIfEEEZNS1_11reduce_implILb1ES3_N6thrust23THRUST_200600_302600_NS11hip_rocprim26transform_input_iterator_tIS6_NSA_6detail15normal_iteratorINSA_10device_ptrIfEEEE22summary_stats_unary_opIfEEEPS6_S6_23summary_stats_binary_opIfEEE10hipError_tPvRmT1_T2_T3_mT4_P12ihipStream_tbEUlT_E1_NS1_11comp_targetILNS1_3genE0ELNS1_11target_archE4294967295ELNS1_3gpuE0ELNS1_3repE0EEENS1_30default_config_static_selectorELNS0_4arch9wavefront6targetE0EEEvSR_.numbered_sgpr, 0
	.set _ZN7rocprim17ROCPRIM_400000_NS6detail17trampoline_kernelINS0_14default_configENS1_22reduce_config_selectorI18summary_stats_dataIfEEEZNS1_11reduce_implILb1ES3_N6thrust23THRUST_200600_302600_NS11hip_rocprim26transform_input_iterator_tIS6_NSA_6detail15normal_iteratorINSA_10device_ptrIfEEEE22summary_stats_unary_opIfEEEPS6_S6_23summary_stats_binary_opIfEEE10hipError_tPvRmT1_T2_T3_mT4_P12ihipStream_tbEUlT_E1_NS1_11comp_targetILNS1_3genE0ELNS1_11target_archE4294967295ELNS1_3gpuE0ELNS1_3repE0EEENS1_30default_config_static_selectorELNS0_4arch9wavefront6targetE0EEEvSR_.num_named_barrier, 0
	.set _ZN7rocprim17ROCPRIM_400000_NS6detail17trampoline_kernelINS0_14default_configENS1_22reduce_config_selectorI18summary_stats_dataIfEEEZNS1_11reduce_implILb1ES3_N6thrust23THRUST_200600_302600_NS11hip_rocprim26transform_input_iterator_tIS6_NSA_6detail15normal_iteratorINSA_10device_ptrIfEEEE22summary_stats_unary_opIfEEEPS6_S6_23summary_stats_binary_opIfEEE10hipError_tPvRmT1_T2_T3_mT4_P12ihipStream_tbEUlT_E1_NS1_11comp_targetILNS1_3genE0ELNS1_11target_archE4294967295ELNS1_3gpuE0ELNS1_3repE0EEENS1_30default_config_static_selectorELNS0_4arch9wavefront6targetE0EEEvSR_.private_seg_size, 0
	.set _ZN7rocprim17ROCPRIM_400000_NS6detail17trampoline_kernelINS0_14default_configENS1_22reduce_config_selectorI18summary_stats_dataIfEEEZNS1_11reduce_implILb1ES3_N6thrust23THRUST_200600_302600_NS11hip_rocprim26transform_input_iterator_tIS6_NSA_6detail15normal_iteratorINSA_10device_ptrIfEEEE22summary_stats_unary_opIfEEEPS6_S6_23summary_stats_binary_opIfEEE10hipError_tPvRmT1_T2_T3_mT4_P12ihipStream_tbEUlT_E1_NS1_11comp_targetILNS1_3genE0ELNS1_11target_archE4294967295ELNS1_3gpuE0ELNS1_3repE0EEENS1_30default_config_static_selectorELNS0_4arch9wavefront6targetE0EEEvSR_.uses_vcc, 0
	.set _ZN7rocprim17ROCPRIM_400000_NS6detail17trampoline_kernelINS0_14default_configENS1_22reduce_config_selectorI18summary_stats_dataIfEEEZNS1_11reduce_implILb1ES3_N6thrust23THRUST_200600_302600_NS11hip_rocprim26transform_input_iterator_tIS6_NSA_6detail15normal_iteratorINSA_10device_ptrIfEEEE22summary_stats_unary_opIfEEEPS6_S6_23summary_stats_binary_opIfEEE10hipError_tPvRmT1_T2_T3_mT4_P12ihipStream_tbEUlT_E1_NS1_11comp_targetILNS1_3genE0ELNS1_11target_archE4294967295ELNS1_3gpuE0ELNS1_3repE0EEENS1_30default_config_static_selectorELNS0_4arch9wavefront6targetE0EEEvSR_.uses_flat_scratch, 0
	.set _ZN7rocprim17ROCPRIM_400000_NS6detail17trampoline_kernelINS0_14default_configENS1_22reduce_config_selectorI18summary_stats_dataIfEEEZNS1_11reduce_implILb1ES3_N6thrust23THRUST_200600_302600_NS11hip_rocprim26transform_input_iterator_tIS6_NSA_6detail15normal_iteratorINSA_10device_ptrIfEEEE22summary_stats_unary_opIfEEEPS6_S6_23summary_stats_binary_opIfEEE10hipError_tPvRmT1_T2_T3_mT4_P12ihipStream_tbEUlT_E1_NS1_11comp_targetILNS1_3genE0ELNS1_11target_archE4294967295ELNS1_3gpuE0ELNS1_3repE0EEENS1_30default_config_static_selectorELNS0_4arch9wavefront6targetE0EEEvSR_.has_dyn_sized_stack, 0
	.set _ZN7rocprim17ROCPRIM_400000_NS6detail17trampoline_kernelINS0_14default_configENS1_22reduce_config_selectorI18summary_stats_dataIfEEEZNS1_11reduce_implILb1ES3_N6thrust23THRUST_200600_302600_NS11hip_rocprim26transform_input_iterator_tIS6_NSA_6detail15normal_iteratorINSA_10device_ptrIfEEEE22summary_stats_unary_opIfEEEPS6_S6_23summary_stats_binary_opIfEEE10hipError_tPvRmT1_T2_T3_mT4_P12ihipStream_tbEUlT_E1_NS1_11comp_targetILNS1_3genE0ELNS1_11target_archE4294967295ELNS1_3gpuE0ELNS1_3repE0EEENS1_30default_config_static_selectorELNS0_4arch9wavefront6targetE0EEEvSR_.has_recursion, 0
	.set _ZN7rocprim17ROCPRIM_400000_NS6detail17trampoline_kernelINS0_14default_configENS1_22reduce_config_selectorI18summary_stats_dataIfEEEZNS1_11reduce_implILb1ES3_N6thrust23THRUST_200600_302600_NS11hip_rocprim26transform_input_iterator_tIS6_NSA_6detail15normal_iteratorINSA_10device_ptrIfEEEE22summary_stats_unary_opIfEEEPS6_S6_23summary_stats_binary_opIfEEE10hipError_tPvRmT1_T2_T3_mT4_P12ihipStream_tbEUlT_E1_NS1_11comp_targetILNS1_3genE0ELNS1_11target_archE4294967295ELNS1_3gpuE0ELNS1_3repE0EEENS1_30default_config_static_selectorELNS0_4arch9wavefront6targetE0EEEvSR_.has_indirect_call, 0
	.section	.AMDGPU.csdata,"",@progbits
; Kernel info:
; codeLenInByte = 0
; TotalNumSgprs: 0
; NumVgprs: 0
; ScratchSize: 0
; MemoryBound: 0
; FloatMode: 240
; IeeeMode: 1
; LDSByteSize: 0 bytes/workgroup (compile time only)
; SGPRBlocks: 0
; VGPRBlocks: 0
; NumSGPRsForWavesPerEU: 1
; NumVGPRsForWavesPerEU: 1
; Occupancy: 16
; WaveLimiterHint : 0
; COMPUTE_PGM_RSRC2:SCRATCH_EN: 0
; COMPUTE_PGM_RSRC2:USER_SGPR: 6
; COMPUTE_PGM_RSRC2:TRAP_HANDLER: 0
; COMPUTE_PGM_RSRC2:TGID_X_EN: 1
; COMPUTE_PGM_RSRC2:TGID_Y_EN: 0
; COMPUTE_PGM_RSRC2:TGID_Z_EN: 0
; COMPUTE_PGM_RSRC2:TIDIG_COMP_CNT: 0
	.section	.text._ZN7rocprim17ROCPRIM_400000_NS6detail17trampoline_kernelINS0_14default_configENS1_22reduce_config_selectorI18summary_stats_dataIfEEEZNS1_11reduce_implILb1ES3_N6thrust23THRUST_200600_302600_NS11hip_rocprim26transform_input_iterator_tIS6_NSA_6detail15normal_iteratorINSA_10device_ptrIfEEEE22summary_stats_unary_opIfEEEPS6_S6_23summary_stats_binary_opIfEEE10hipError_tPvRmT1_T2_T3_mT4_P12ihipStream_tbEUlT_E1_NS1_11comp_targetILNS1_3genE5ELNS1_11target_archE942ELNS1_3gpuE9ELNS1_3repE0EEENS1_30default_config_static_selectorELNS0_4arch9wavefront6targetE0EEEvSR_,"axG",@progbits,_ZN7rocprim17ROCPRIM_400000_NS6detail17trampoline_kernelINS0_14default_configENS1_22reduce_config_selectorI18summary_stats_dataIfEEEZNS1_11reduce_implILb1ES3_N6thrust23THRUST_200600_302600_NS11hip_rocprim26transform_input_iterator_tIS6_NSA_6detail15normal_iteratorINSA_10device_ptrIfEEEE22summary_stats_unary_opIfEEEPS6_S6_23summary_stats_binary_opIfEEE10hipError_tPvRmT1_T2_T3_mT4_P12ihipStream_tbEUlT_E1_NS1_11comp_targetILNS1_3genE5ELNS1_11target_archE942ELNS1_3gpuE9ELNS1_3repE0EEENS1_30default_config_static_selectorELNS0_4arch9wavefront6targetE0EEEvSR_,comdat
	.protected	_ZN7rocprim17ROCPRIM_400000_NS6detail17trampoline_kernelINS0_14default_configENS1_22reduce_config_selectorI18summary_stats_dataIfEEEZNS1_11reduce_implILb1ES3_N6thrust23THRUST_200600_302600_NS11hip_rocprim26transform_input_iterator_tIS6_NSA_6detail15normal_iteratorINSA_10device_ptrIfEEEE22summary_stats_unary_opIfEEEPS6_S6_23summary_stats_binary_opIfEEE10hipError_tPvRmT1_T2_T3_mT4_P12ihipStream_tbEUlT_E1_NS1_11comp_targetILNS1_3genE5ELNS1_11target_archE942ELNS1_3gpuE9ELNS1_3repE0EEENS1_30default_config_static_selectorELNS0_4arch9wavefront6targetE0EEEvSR_ ; -- Begin function _ZN7rocprim17ROCPRIM_400000_NS6detail17trampoline_kernelINS0_14default_configENS1_22reduce_config_selectorI18summary_stats_dataIfEEEZNS1_11reduce_implILb1ES3_N6thrust23THRUST_200600_302600_NS11hip_rocprim26transform_input_iterator_tIS6_NSA_6detail15normal_iteratorINSA_10device_ptrIfEEEE22summary_stats_unary_opIfEEEPS6_S6_23summary_stats_binary_opIfEEE10hipError_tPvRmT1_T2_T3_mT4_P12ihipStream_tbEUlT_E1_NS1_11comp_targetILNS1_3genE5ELNS1_11target_archE942ELNS1_3gpuE9ELNS1_3repE0EEENS1_30default_config_static_selectorELNS0_4arch9wavefront6targetE0EEEvSR_
	.globl	_ZN7rocprim17ROCPRIM_400000_NS6detail17trampoline_kernelINS0_14default_configENS1_22reduce_config_selectorI18summary_stats_dataIfEEEZNS1_11reduce_implILb1ES3_N6thrust23THRUST_200600_302600_NS11hip_rocprim26transform_input_iterator_tIS6_NSA_6detail15normal_iteratorINSA_10device_ptrIfEEEE22summary_stats_unary_opIfEEEPS6_S6_23summary_stats_binary_opIfEEE10hipError_tPvRmT1_T2_T3_mT4_P12ihipStream_tbEUlT_E1_NS1_11comp_targetILNS1_3genE5ELNS1_11target_archE942ELNS1_3gpuE9ELNS1_3repE0EEENS1_30default_config_static_selectorELNS0_4arch9wavefront6targetE0EEEvSR_
	.p2align	8
	.type	_ZN7rocprim17ROCPRIM_400000_NS6detail17trampoline_kernelINS0_14default_configENS1_22reduce_config_selectorI18summary_stats_dataIfEEEZNS1_11reduce_implILb1ES3_N6thrust23THRUST_200600_302600_NS11hip_rocprim26transform_input_iterator_tIS6_NSA_6detail15normal_iteratorINSA_10device_ptrIfEEEE22summary_stats_unary_opIfEEEPS6_S6_23summary_stats_binary_opIfEEE10hipError_tPvRmT1_T2_T3_mT4_P12ihipStream_tbEUlT_E1_NS1_11comp_targetILNS1_3genE5ELNS1_11target_archE942ELNS1_3gpuE9ELNS1_3repE0EEENS1_30default_config_static_selectorELNS0_4arch9wavefront6targetE0EEEvSR_,@function
_ZN7rocprim17ROCPRIM_400000_NS6detail17trampoline_kernelINS0_14default_configENS1_22reduce_config_selectorI18summary_stats_dataIfEEEZNS1_11reduce_implILb1ES3_N6thrust23THRUST_200600_302600_NS11hip_rocprim26transform_input_iterator_tIS6_NSA_6detail15normal_iteratorINSA_10device_ptrIfEEEE22summary_stats_unary_opIfEEEPS6_S6_23summary_stats_binary_opIfEEE10hipError_tPvRmT1_T2_T3_mT4_P12ihipStream_tbEUlT_E1_NS1_11comp_targetILNS1_3genE5ELNS1_11target_archE942ELNS1_3gpuE9ELNS1_3repE0EEENS1_30default_config_static_selectorELNS0_4arch9wavefront6targetE0EEEvSR_: ; @_ZN7rocprim17ROCPRIM_400000_NS6detail17trampoline_kernelINS0_14default_configENS1_22reduce_config_selectorI18summary_stats_dataIfEEEZNS1_11reduce_implILb1ES3_N6thrust23THRUST_200600_302600_NS11hip_rocprim26transform_input_iterator_tIS6_NSA_6detail15normal_iteratorINSA_10device_ptrIfEEEE22summary_stats_unary_opIfEEEPS6_S6_23summary_stats_binary_opIfEEE10hipError_tPvRmT1_T2_T3_mT4_P12ihipStream_tbEUlT_E1_NS1_11comp_targetILNS1_3genE5ELNS1_11target_archE942ELNS1_3gpuE9ELNS1_3repE0EEENS1_30default_config_static_selectorELNS0_4arch9wavefront6targetE0EEEvSR_
; %bb.0:
	.section	.rodata,"a",@progbits
	.p2align	6, 0x0
	.amdhsa_kernel _ZN7rocprim17ROCPRIM_400000_NS6detail17trampoline_kernelINS0_14default_configENS1_22reduce_config_selectorI18summary_stats_dataIfEEEZNS1_11reduce_implILb1ES3_N6thrust23THRUST_200600_302600_NS11hip_rocprim26transform_input_iterator_tIS6_NSA_6detail15normal_iteratorINSA_10device_ptrIfEEEE22summary_stats_unary_opIfEEEPS6_S6_23summary_stats_binary_opIfEEE10hipError_tPvRmT1_T2_T3_mT4_P12ihipStream_tbEUlT_E1_NS1_11comp_targetILNS1_3genE5ELNS1_11target_archE942ELNS1_3gpuE9ELNS1_3repE0EEENS1_30default_config_static_selectorELNS0_4arch9wavefront6targetE0EEEvSR_
		.amdhsa_group_segment_fixed_size 0
		.amdhsa_private_segment_fixed_size 0
		.amdhsa_kernarg_size 72
		.amdhsa_user_sgpr_count 6
		.amdhsa_user_sgpr_private_segment_buffer 1
		.amdhsa_user_sgpr_dispatch_ptr 0
		.amdhsa_user_sgpr_queue_ptr 0
		.amdhsa_user_sgpr_kernarg_segment_ptr 1
		.amdhsa_user_sgpr_dispatch_id 0
		.amdhsa_user_sgpr_flat_scratch_init 0
		.amdhsa_user_sgpr_private_segment_size 0
		.amdhsa_wavefront_size32 1
		.amdhsa_uses_dynamic_stack 0
		.amdhsa_system_sgpr_private_segment_wavefront_offset 0
		.amdhsa_system_sgpr_workgroup_id_x 1
		.amdhsa_system_sgpr_workgroup_id_y 0
		.amdhsa_system_sgpr_workgroup_id_z 0
		.amdhsa_system_sgpr_workgroup_info 0
		.amdhsa_system_vgpr_workitem_id 0
		.amdhsa_next_free_vgpr 1
		.amdhsa_next_free_sgpr 1
		.amdhsa_reserve_vcc 0
		.amdhsa_reserve_flat_scratch 0
		.amdhsa_float_round_mode_32 0
		.amdhsa_float_round_mode_16_64 0
		.amdhsa_float_denorm_mode_32 3
		.amdhsa_float_denorm_mode_16_64 3
		.amdhsa_dx10_clamp 1
		.amdhsa_ieee_mode 1
		.amdhsa_fp16_overflow 0
		.amdhsa_workgroup_processor_mode 1
		.amdhsa_memory_ordered 1
		.amdhsa_forward_progress 1
		.amdhsa_shared_vgpr_count 0
		.amdhsa_exception_fp_ieee_invalid_op 0
		.amdhsa_exception_fp_denorm_src 0
		.amdhsa_exception_fp_ieee_div_zero 0
		.amdhsa_exception_fp_ieee_overflow 0
		.amdhsa_exception_fp_ieee_underflow 0
		.amdhsa_exception_fp_ieee_inexact 0
		.amdhsa_exception_int_div_zero 0
	.end_amdhsa_kernel
	.section	.text._ZN7rocprim17ROCPRIM_400000_NS6detail17trampoline_kernelINS0_14default_configENS1_22reduce_config_selectorI18summary_stats_dataIfEEEZNS1_11reduce_implILb1ES3_N6thrust23THRUST_200600_302600_NS11hip_rocprim26transform_input_iterator_tIS6_NSA_6detail15normal_iteratorINSA_10device_ptrIfEEEE22summary_stats_unary_opIfEEEPS6_S6_23summary_stats_binary_opIfEEE10hipError_tPvRmT1_T2_T3_mT4_P12ihipStream_tbEUlT_E1_NS1_11comp_targetILNS1_3genE5ELNS1_11target_archE942ELNS1_3gpuE9ELNS1_3repE0EEENS1_30default_config_static_selectorELNS0_4arch9wavefront6targetE0EEEvSR_,"axG",@progbits,_ZN7rocprim17ROCPRIM_400000_NS6detail17trampoline_kernelINS0_14default_configENS1_22reduce_config_selectorI18summary_stats_dataIfEEEZNS1_11reduce_implILb1ES3_N6thrust23THRUST_200600_302600_NS11hip_rocprim26transform_input_iterator_tIS6_NSA_6detail15normal_iteratorINSA_10device_ptrIfEEEE22summary_stats_unary_opIfEEEPS6_S6_23summary_stats_binary_opIfEEE10hipError_tPvRmT1_T2_T3_mT4_P12ihipStream_tbEUlT_E1_NS1_11comp_targetILNS1_3genE5ELNS1_11target_archE942ELNS1_3gpuE9ELNS1_3repE0EEENS1_30default_config_static_selectorELNS0_4arch9wavefront6targetE0EEEvSR_,comdat
.Lfunc_end28:
	.size	_ZN7rocprim17ROCPRIM_400000_NS6detail17trampoline_kernelINS0_14default_configENS1_22reduce_config_selectorI18summary_stats_dataIfEEEZNS1_11reduce_implILb1ES3_N6thrust23THRUST_200600_302600_NS11hip_rocprim26transform_input_iterator_tIS6_NSA_6detail15normal_iteratorINSA_10device_ptrIfEEEE22summary_stats_unary_opIfEEEPS6_S6_23summary_stats_binary_opIfEEE10hipError_tPvRmT1_T2_T3_mT4_P12ihipStream_tbEUlT_E1_NS1_11comp_targetILNS1_3genE5ELNS1_11target_archE942ELNS1_3gpuE9ELNS1_3repE0EEENS1_30default_config_static_selectorELNS0_4arch9wavefront6targetE0EEEvSR_, .Lfunc_end28-_ZN7rocprim17ROCPRIM_400000_NS6detail17trampoline_kernelINS0_14default_configENS1_22reduce_config_selectorI18summary_stats_dataIfEEEZNS1_11reduce_implILb1ES3_N6thrust23THRUST_200600_302600_NS11hip_rocprim26transform_input_iterator_tIS6_NSA_6detail15normal_iteratorINSA_10device_ptrIfEEEE22summary_stats_unary_opIfEEEPS6_S6_23summary_stats_binary_opIfEEE10hipError_tPvRmT1_T2_T3_mT4_P12ihipStream_tbEUlT_E1_NS1_11comp_targetILNS1_3genE5ELNS1_11target_archE942ELNS1_3gpuE9ELNS1_3repE0EEENS1_30default_config_static_selectorELNS0_4arch9wavefront6targetE0EEEvSR_
                                        ; -- End function
	.set _ZN7rocprim17ROCPRIM_400000_NS6detail17trampoline_kernelINS0_14default_configENS1_22reduce_config_selectorI18summary_stats_dataIfEEEZNS1_11reduce_implILb1ES3_N6thrust23THRUST_200600_302600_NS11hip_rocprim26transform_input_iterator_tIS6_NSA_6detail15normal_iteratorINSA_10device_ptrIfEEEE22summary_stats_unary_opIfEEEPS6_S6_23summary_stats_binary_opIfEEE10hipError_tPvRmT1_T2_T3_mT4_P12ihipStream_tbEUlT_E1_NS1_11comp_targetILNS1_3genE5ELNS1_11target_archE942ELNS1_3gpuE9ELNS1_3repE0EEENS1_30default_config_static_selectorELNS0_4arch9wavefront6targetE0EEEvSR_.num_vgpr, 0
	.set _ZN7rocprim17ROCPRIM_400000_NS6detail17trampoline_kernelINS0_14default_configENS1_22reduce_config_selectorI18summary_stats_dataIfEEEZNS1_11reduce_implILb1ES3_N6thrust23THRUST_200600_302600_NS11hip_rocprim26transform_input_iterator_tIS6_NSA_6detail15normal_iteratorINSA_10device_ptrIfEEEE22summary_stats_unary_opIfEEEPS6_S6_23summary_stats_binary_opIfEEE10hipError_tPvRmT1_T2_T3_mT4_P12ihipStream_tbEUlT_E1_NS1_11comp_targetILNS1_3genE5ELNS1_11target_archE942ELNS1_3gpuE9ELNS1_3repE0EEENS1_30default_config_static_selectorELNS0_4arch9wavefront6targetE0EEEvSR_.num_agpr, 0
	.set _ZN7rocprim17ROCPRIM_400000_NS6detail17trampoline_kernelINS0_14default_configENS1_22reduce_config_selectorI18summary_stats_dataIfEEEZNS1_11reduce_implILb1ES3_N6thrust23THRUST_200600_302600_NS11hip_rocprim26transform_input_iterator_tIS6_NSA_6detail15normal_iteratorINSA_10device_ptrIfEEEE22summary_stats_unary_opIfEEEPS6_S6_23summary_stats_binary_opIfEEE10hipError_tPvRmT1_T2_T3_mT4_P12ihipStream_tbEUlT_E1_NS1_11comp_targetILNS1_3genE5ELNS1_11target_archE942ELNS1_3gpuE9ELNS1_3repE0EEENS1_30default_config_static_selectorELNS0_4arch9wavefront6targetE0EEEvSR_.numbered_sgpr, 0
	.set _ZN7rocprim17ROCPRIM_400000_NS6detail17trampoline_kernelINS0_14default_configENS1_22reduce_config_selectorI18summary_stats_dataIfEEEZNS1_11reduce_implILb1ES3_N6thrust23THRUST_200600_302600_NS11hip_rocprim26transform_input_iterator_tIS6_NSA_6detail15normal_iteratorINSA_10device_ptrIfEEEE22summary_stats_unary_opIfEEEPS6_S6_23summary_stats_binary_opIfEEE10hipError_tPvRmT1_T2_T3_mT4_P12ihipStream_tbEUlT_E1_NS1_11comp_targetILNS1_3genE5ELNS1_11target_archE942ELNS1_3gpuE9ELNS1_3repE0EEENS1_30default_config_static_selectorELNS0_4arch9wavefront6targetE0EEEvSR_.num_named_barrier, 0
	.set _ZN7rocprim17ROCPRIM_400000_NS6detail17trampoline_kernelINS0_14default_configENS1_22reduce_config_selectorI18summary_stats_dataIfEEEZNS1_11reduce_implILb1ES3_N6thrust23THRUST_200600_302600_NS11hip_rocprim26transform_input_iterator_tIS6_NSA_6detail15normal_iteratorINSA_10device_ptrIfEEEE22summary_stats_unary_opIfEEEPS6_S6_23summary_stats_binary_opIfEEE10hipError_tPvRmT1_T2_T3_mT4_P12ihipStream_tbEUlT_E1_NS1_11comp_targetILNS1_3genE5ELNS1_11target_archE942ELNS1_3gpuE9ELNS1_3repE0EEENS1_30default_config_static_selectorELNS0_4arch9wavefront6targetE0EEEvSR_.private_seg_size, 0
	.set _ZN7rocprim17ROCPRIM_400000_NS6detail17trampoline_kernelINS0_14default_configENS1_22reduce_config_selectorI18summary_stats_dataIfEEEZNS1_11reduce_implILb1ES3_N6thrust23THRUST_200600_302600_NS11hip_rocprim26transform_input_iterator_tIS6_NSA_6detail15normal_iteratorINSA_10device_ptrIfEEEE22summary_stats_unary_opIfEEEPS6_S6_23summary_stats_binary_opIfEEE10hipError_tPvRmT1_T2_T3_mT4_P12ihipStream_tbEUlT_E1_NS1_11comp_targetILNS1_3genE5ELNS1_11target_archE942ELNS1_3gpuE9ELNS1_3repE0EEENS1_30default_config_static_selectorELNS0_4arch9wavefront6targetE0EEEvSR_.uses_vcc, 0
	.set _ZN7rocprim17ROCPRIM_400000_NS6detail17trampoline_kernelINS0_14default_configENS1_22reduce_config_selectorI18summary_stats_dataIfEEEZNS1_11reduce_implILb1ES3_N6thrust23THRUST_200600_302600_NS11hip_rocprim26transform_input_iterator_tIS6_NSA_6detail15normal_iteratorINSA_10device_ptrIfEEEE22summary_stats_unary_opIfEEEPS6_S6_23summary_stats_binary_opIfEEE10hipError_tPvRmT1_T2_T3_mT4_P12ihipStream_tbEUlT_E1_NS1_11comp_targetILNS1_3genE5ELNS1_11target_archE942ELNS1_3gpuE9ELNS1_3repE0EEENS1_30default_config_static_selectorELNS0_4arch9wavefront6targetE0EEEvSR_.uses_flat_scratch, 0
	.set _ZN7rocprim17ROCPRIM_400000_NS6detail17trampoline_kernelINS0_14default_configENS1_22reduce_config_selectorI18summary_stats_dataIfEEEZNS1_11reduce_implILb1ES3_N6thrust23THRUST_200600_302600_NS11hip_rocprim26transform_input_iterator_tIS6_NSA_6detail15normal_iteratorINSA_10device_ptrIfEEEE22summary_stats_unary_opIfEEEPS6_S6_23summary_stats_binary_opIfEEE10hipError_tPvRmT1_T2_T3_mT4_P12ihipStream_tbEUlT_E1_NS1_11comp_targetILNS1_3genE5ELNS1_11target_archE942ELNS1_3gpuE9ELNS1_3repE0EEENS1_30default_config_static_selectorELNS0_4arch9wavefront6targetE0EEEvSR_.has_dyn_sized_stack, 0
	.set _ZN7rocprim17ROCPRIM_400000_NS6detail17trampoline_kernelINS0_14default_configENS1_22reduce_config_selectorI18summary_stats_dataIfEEEZNS1_11reduce_implILb1ES3_N6thrust23THRUST_200600_302600_NS11hip_rocprim26transform_input_iterator_tIS6_NSA_6detail15normal_iteratorINSA_10device_ptrIfEEEE22summary_stats_unary_opIfEEEPS6_S6_23summary_stats_binary_opIfEEE10hipError_tPvRmT1_T2_T3_mT4_P12ihipStream_tbEUlT_E1_NS1_11comp_targetILNS1_3genE5ELNS1_11target_archE942ELNS1_3gpuE9ELNS1_3repE0EEENS1_30default_config_static_selectorELNS0_4arch9wavefront6targetE0EEEvSR_.has_recursion, 0
	.set _ZN7rocprim17ROCPRIM_400000_NS6detail17trampoline_kernelINS0_14default_configENS1_22reduce_config_selectorI18summary_stats_dataIfEEEZNS1_11reduce_implILb1ES3_N6thrust23THRUST_200600_302600_NS11hip_rocprim26transform_input_iterator_tIS6_NSA_6detail15normal_iteratorINSA_10device_ptrIfEEEE22summary_stats_unary_opIfEEEPS6_S6_23summary_stats_binary_opIfEEE10hipError_tPvRmT1_T2_T3_mT4_P12ihipStream_tbEUlT_E1_NS1_11comp_targetILNS1_3genE5ELNS1_11target_archE942ELNS1_3gpuE9ELNS1_3repE0EEENS1_30default_config_static_selectorELNS0_4arch9wavefront6targetE0EEEvSR_.has_indirect_call, 0
	.section	.AMDGPU.csdata,"",@progbits
; Kernel info:
; codeLenInByte = 0
; TotalNumSgprs: 0
; NumVgprs: 0
; ScratchSize: 0
; MemoryBound: 0
; FloatMode: 240
; IeeeMode: 1
; LDSByteSize: 0 bytes/workgroup (compile time only)
; SGPRBlocks: 0
; VGPRBlocks: 0
; NumSGPRsForWavesPerEU: 1
; NumVGPRsForWavesPerEU: 1
; Occupancy: 16
; WaveLimiterHint : 0
; COMPUTE_PGM_RSRC2:SCRATCH_EN: 0
; COMPUTE_PGM_RSRC2:USER_SGPR: 6
; COMPUTE_PGM_RSRC2:TRAP_HANDLER: 0
; COMPUTE_PGM_RSRC2:TGID_X_EN: 1
; COMPUTE_PGM_RSRC2:TGID_Y_EN: 0
; COMPUTE_PGM_RSRC2:TGID_Z_EN: 0
; COMPUTE_PGM_RSRC2:TIDIG_COMP_CNT: 0
	.section	.text._ZN7rocprim17ROCPRIM_400000_NS6detail17trampoline_kernelINS0_14default_configENS1_22reduce_config_selectorI18summary_stats_dataIfEEEZNS1_11reduce_implILb1ES3_N6thrust23THRUST_200600_302600_NS11hip_rocprim26transform_input_iterator_tIS6_NSA_6detail15normal_iteratorINSA_10device_ptrIfEEEE22summary_stats_unary_opIfEEEPS6_S6_23summary_stats_binary_opIfEEE10hipError_tPvRmT1_T2_T3_mT4_P12ihipStream_tbEUlT_E1_NS1_11comp_targetILNS1_3genE4ELNS1_11target_archE910ELNS1_3gpuE8ELNS1_3repE0EEENS1_30default_config_static_selectorELNS0_4arch9wavefront6targetE0EEEvSR_,"axG",@progbits,_ZN7rocprim17ROCPRIM_400000_NS6detail17trampoline_kernelINS0_14default_configENS1_22reduce_config_selectorI18summary_stats_dataIfEEEZNS1_11reduce_implILb1ES3_N6thrust23THRUST_200600_302600_NS11hip_rocprim26transform_input_iterator_tIS6_NSA_6detail15normal_iteratorINSA_10device_ptrIfEEEE22summary_stats_unary_opIfEEEPS6_S6_23summary_stats_binary_opIfEEE10hipError_tPvRmT1_T2_T3_mT4_P12ihipStream_tbEUlT_E1_NS1_11comp_targetILNS1_3genE4ELNS1_11target_archE910ELNS1_3gpuE8ELNS1_3repE0EEENS1_30default_config_static_selectorELNS0_4arch9wavefront6targetE0EEEvSR_,comdat
	.protected	_ZN7rocprim17ROCPRIM_400000_NS6detail17trampoline_kernelINS0_14default_configENS1_22reduce_config_selectorI18summary_stats_dataIfEEEZNS1_11reduce_implILb1ES3_N6thrust23THRUST_200600_302600_NS11hip_rocprim26transform_input_iterator_tIS6_NSA_6detail15normal_iteratorINSA_10device_ptrIfEEEE22summary_stats_unary_opIfEEEPS6_S6_23summary_stats_binary_opIfEEE10hipError_tPvRmT1_T2_T3_mT4_P12ihipStream_tbEUlT_E1_NS1_11comp_targetILNS1_3genE4ELNS1_11target_archE910ELNS1_3gpuE8ELNS1_3repE0EEENS1_30default_config_static_selectorELNS0_4arch9wavefront6targetE0EEEvSR_ ; -- Begin function _ZN7rocprim17ROCPRIM_400000_NS6detail17trampoline_kernelINS0_14default_configENS1_22reduce_config_selectorI18summary_stats_dataIfEEEZNS1_11reduce_implILb1ES3_N6thrust23THRUST_200600_302600_NS11hip_rocprim26transform_input_iterator_tIS6_NSA_6detail15normal_iteratorINSA_10device_ptrIfEEEE22summary_stats_unary_opIfEEEPS6_S6_23summary_stats_binary_opIfEEE10hipError_tPvRmT1_T2_T3_mT4_P12ihipStream_tbEUlT_E1_NS1_11comp_targetILNS1_3genE4ELNS1_11target_archE910ELNS1_3gpuE8ELNS1_3repE0EEENS1_30default_config_static_selectorELNS0_4arch9wavefront6targetE0EEEvSR_
	.globl	_ZN7rocprim17ROCPRIM_400000_NS6detail17trampoline_kernelINS0_14default_configENS1_22reduce_config_selectorI18summary_stats_dataIfEEEZNS1_11reduce_implILb1ES3_N6thrust23THRUST_200600_302600_NS11hip_rocprim26transform_input_iterator_tIS6_NSA_6detail15normal_iteratorINSA_10device_ptrIfEEEE22summary_stats_unary_opIfEEEPS6_S6_23summary_stats_binary_opIfEEE10hipError_tPvRmT1_T2_T3_mT4_P12ihipStream_tbEUlT_E1_NS1_11comp_targetILNS1_3genE4ELNS1_11target_archE910ELNS1_3gpuE8ELNS1_3repE0EEENS1_30default_config_static_selectorELNS0_4arch9wavefront6targetE0EEEvSR_
	.p2align	8
	.type	_ZN7rocprim17ROCPRIM_400000_NS6detail17trampoline_kernelINS0_14default_configENS1_22reduce_config_selectorI18summary_stats_dataIfEEEZNS1_11reduce_implILb1ES3_N6thrust23THRUST_200600_302600_NS11hip_rocprim26transform_input_iterator_tIS6_NSA_6detail15normal_iteratorINSA_10device_ptrIfEEEE22summary_stats_unary_opIfEEEPS6_S6_23summary_stats_binary_opIfEEE10hipError_tPvRmT1_T2_T3_mT4_P12ihipStream_tbEUlT_E1_NS1_11comp_targetILNS1_3genE4ELNS1_11target_archE910ELNS1_3gpuE8ELNS1_3repE0EEENS1_30default_config_static_selectorELNS0_4arch9wavefront6targetE0EEEvSR_,@function
_ZN7rocprim17ROCPRIM_400000_NS6detail17trampoline_kernelINS0_14default_configENS1_22reduce_config_selectorI18summary_stats_dataIfEEEZNS1_11reduce_implILb1ES3_N6thrust23THRUST_200600_302600_NS11hip_rocprim26transform_input_iterator_tIS6_NSA_6detail15normal_iteratorINSA_10device_ptrIfEEEE22summary_stats_unary_opIfEEEPS6_S6_23summary_stats_binary_opIfEEE10hipError_tPvRmT1_T2_T3_mT4_P12ihipStream_tbEUlT_E1_NS1_11comp_targetILNS1_3genE4ELNS1_11target_archE910ELNS1_3gpuE8ELNS1_3repE0EEENS1_30default_config_static_selectorELNS0_4arch9wavefront6targetE0EEEvSR_: ; @_ZN7rocprim17ROCPRIM_400000_NS6detail17trampoline_kernelINS0_14default_configENS1_22reduce_config_selectorI18summary_stats_dataIfEEEZNS1_11reduce_implILb1ES3_N6thrust23THRUST_200600_302600_NS11hip_rocprim26transform_input_iterator_tIS6_NSA_6detail15normal_iteratorINSA_10device_ptrIfEEEE22summary_stats_unary_opIfEEEPS6_S6_23summary_stats_binary_opIfEEE10hipError_tPvRmT1_T2_T3_mT4_P12ihipStream_tbEUlT_E1_NS1_11comp_targetILNS1_3genE4ELNS1_11target_archE910ELNS1_3gpuE8ELNS1_3repE0EEENS1_30default_config_static_selectorELNS0_4arch9wavefront6targetE0EEEvSR_
; %bb.0:
	.section	.rodata,"a",@progbits
	.p2align	6, 0x0
	.amdhsa_kernel _ZN7rocprim17ROCPRIM_400000_NS6detail17trampoline_kernelINS0_14default_configENS1_22reduce_config_selectorI18summary_stats_dataIfEEEZNS1_11reduce_implILb1ES3_N6thrust23THRUST_200600_302600_NS11hip_rocprim26transform_input_iterator_tIS6_NSA_6detail15normal_iteratorINSA_10device_ptrIfEEEE22summary_stats_unary_opIfEEEPS6_S6_23summary_stats_binary_opIfEEE10hipError_tPvRmT1_T2_T3_mT4_P12ihipStream_tbEUlT_E1_NS1_11comp_targetILNS1_3genE4ELNS1_11target_archE910ELNS1_3gpuE8ELNS1_3repE0EEENS1_30default_config_static_selectorELNS0_4arch9wavefront6targetE0EEEvSR_
		.amdhsa_group_segment_fixed_size 0
		.amdhsa_private_segment_fixed_size 0
		.amdhsa_kernarg_size 72
		.amdhsa_user_sgpr_count 6
		.amdhsa_user_sgpr_private_segment_buffer 1
		.amdhsa_user_sgpr_dispatch_ptr 0
		.amdhsa_user_sgpr_queue_ptr 0
		.amdhsa_user_sgpr_kernarg_segment_ptr 1
		.amdhsa_user_sgpr_dispatch_id 0
		.amdhsa_user_sgpr_flat_scratch_init 0
		.amdhsa_user_sgpr_private_segment_size 0
		.amdhsa_wavefront_size32 1
		.amdhsa_uses_dynamic_stack 0
		.amdhsa_system_sgpr_private_segment_wavefront_offset 0
		.amdhsa_system_sgpr_workgroup_id_x 1
		.amdhsa_system_sgpr_workgroup_id_y 0
		.amdhsa_system_sgpr_workgroup_id_z 0
		.amdhsa_system_sgpr_workgroup_info 0
		.amdhsa_system_vgpr_workitem_id 0
		.amdhsa_next_free_vgpr 1
		.amdhsa_next_free_sgpr 1
		.amdhsa_reserve_vcc 0
		.amdhsa_reserve_flat_scratch 0
		.amdhsa_float_round_mode_32 0
		.amdhsa_float_round_mode_16_64 0
		.amdhsa_float_denorm_mode_32 3
		.amdhsa_float_denorm_mode_16_64 3
		.amdhsa_dx10_clamp 1
		.amdhsa_ieee_mode 1
		.amdhsa_fp16_overflow 0
		.amdhsa_workgroup_processor_mode 1
		.amdhsa_memory_ordered 1
		.amdhsa_forward_progress 1
		.amdhsa_shared_vgpr_count 0
		.amdhsa_exception_fp_ieee_invalid_op 0
		.amdhsa_exception_fp_denorm_src 0
		.amdhsa_exception_fp_ieee_div_zero 0
		.amdhsa_exception_fp_ieee_overflow 0
		.amdhsa_exception_fp_ieee_underflow 0
		.amdhsa_exception_fp_ieee_inexact 0
		.amdhsa_exception_int_div_zero 0
	.end_amdhsa_kernel
	.section	.text._ZN7rocprim17ROCPRIM_400000_NS6detail17trampoline_kernelINS0_14default_configENS1_22reduce_config_selectorI18summary_stats_dataIfEEEZNS1_11reduce_implILb1ES3_N6thrust23THRUST_200600_302600_NS11hip_rocprim26transform_input_iterator_tIS6_NSA_6detail15normal_iteratorINSA_10device_ptrIfEEEE22summary_stats_unary_opIfEEEPS6_S6_23summary_stats_binary_opIfEEE10hipError_tPvRmT1_T2_T3_mT4_P12ihipStream_tbEUlT_E1_NS1_11comp_targetILNS1_3genE4ELNS1_11target_archE910ELNS1_3gpuE8ELNS1_3repE0EEENS1_30default_config_static_selectorELNS0_4arch9wavefront6targetE0EEEvSR_,"axG",@progbits,_ZN7rocprim17ROCPRIM_400000_NS6detail17trampoline_kernelINS0_14default_configENS1_22reduce_config_selectorI18summary_stats_dataIfEEEZNS1_11reduce_implILb1ES3_N6thrust23THRUST_200600_302600_NS11hip_rocprim26transform_input_iterator_tIS6_NSA_6detail15normal_iteratorINSA_10device_ptrIfEEEE22summary_stats_unary_opIfEEEPS6_S6_23summary_stats_binary_opIfEEE10hipError_tPvRmT1_T2_T3_mT4_P12ihipStream_tbEUlT_E1_NS1_11comp_targetILNS1_3genE4ELNS1_11target_archE910ELNS1_3gpuE8ELNS1_3repE0EEENS1_30default_config_static_selectorELNS0_4arch9wavefront6targetE0EEEvSR_,comdat
.Lfunc_end29:
	.size	_ZN7rocprim17ROCPRIM_400000_NS6detail17trampoline_kernelINS0_14default_configENS1_22reduce_config_selectorI18summary_stats_dataIfEEEZNS1_11reduce_implILb1ES3_N6thrust23THRUST_200600_302600_NS11hip_rocprim26transform_input_iterator_tIS6_NSA_6detail15normal_iteratorINSA_10device_ptrIfEEEE22summary_stats_unary_opIfEEEPS6_S6_23summary_stats_binary_opIfEEE10hipError_tPvRmT1_T2_T3_mT4_P12ihipStream_tbEUlT_E1_NS1_11comp_targetILNS1_3genE4ELNS1_11target_archE910ELNS1_3gpuE8ELNS1_3repE0EEENS1_30default_config_static_selectorELNS0_4arch9wavefront6targetE0EEEvSR_, .Lfunc_end29-_ZN7rocprim17ROCPRIM_400000_NS6detail17trampoline_kernelINS0_14default_configENS1_22reduce_config_selectorI18summary_stats_dataIfEEEZNS1_11reduce_implILb1ES3_N6thrust23THRUST_200600_302600_NS11hip_rocprim26transform_input_iterator_tIS6_NSA_6detail15normal_iteratorINSA_10device_ptrIfEEEE22summary_stats_unary_opIfEEEPS6_S6_23summary_stats_binary_opIfEEE10hipError_tPvRmT1_T2_T3_mT4_P12ihipStream_tbEUlT_E1_NS1_11comp_targetILNS1_3genE4ELNS1_11target_archE910ELNS1_3gpuE8ELNS1_3repE0EEENS1_30default_config_static_selectorELNS0_4arch9wavefront6targetE0EEEvSR_
                                        ; -- End function
	.set _ZN7rocprim17ROCPRIM_400000_NS6detail17trampoline_kernelINS0_14default_configENS1_22reduce_config_selectorI18summary_stats_dataIfEEEZNS1_11reduce_implILb1ES3_N6thrust23THRUST_200600_302600_NS11hip_rocprim26transform_input_iterator_tIS6_NSA_6detail15normal_iteratorINSA_10device_ptrIfEEEE22summary_stats_unary_opIfEEEPS6_S6_23summary_stats_binary_opIfEEE10hipError_tPvRmT1_T2_T3_mT4_P12ihipStream_tbEUlT_E1_NS1_11comp_targetILNS1_3genE4ELNS1_11target_archE910ELNS1_3gpuE8ELNS1_3repE0EEENS1_30default_config_static_selectorELNS0_4arch9wavefront6targetE0EEEvSR_.num_vgpr, 0
	.set _ZN7rocprim17ROCPRIM_400000_NS6detail17trampoline_kernelINS0_14default_configENS1_22reduce_config_selectorI18summary_stats_dataIfEEEZNS1_11reduce_implILb1ES3_N6thrust23THRUST_200600_302600_NS11hip_rocprim26transform_input_iterator_tIS6_NSA_6detail15normal_iteratorINSA_10device_ptrIfEEEE22summary_stats_unary_opIfEEEPS6_S6_23summary_stats_binary_opIfEEE10hipError_tPvRmT1_T2_T3_mT4_P12ihipStream_tbEUlT_E1_NS1_11comp_targetILNS1_3genE4ELNS1_11target_archE910ELNS1_3gpuE8ELNS1_3repE0EEENS1_30default_config_static_selectorELNS0_4arch9wavefront6targetE0EEEvSR_.num_agpr, 0
	.set _ZN7rocprim17ROCPRIM_400000_NS6detail17trampoline_kernelINS0_14default_configENS1_22reduce_config_selectorI18summary_stats_dataIfEEEZNS1_11reduce_implILb1ES3_N6thrust23THRUST_200600_302600_NS11hip_rocprim26transform_input_iterator_tIS6_NSA_6detail15normal_iteratorINSA_10device_ptrIfEEEE22summary_stats_unary_opIfEEEPS6_S6_23summary_stats_binary_opIfEEE10hipError_tPvRmT1_T2_T3_mT4_P12ihipStream_tbEUlT_E1_NS1_11comp_targetILNS1_3genE4ELNS1_11target_archE910ELNS1_3gpuE8ELNS1_3repE0EEENS1_30default_config_static_selectorELNS0_4arch9wavefront6targetE0EEEvSR_.numbered_sgpr, 0
	.set _ZN7rocprim17ROCPRIM_400000_NS6detail17trampoline_kernelINS0_14default_configENS1_22reduce_config_selectorI18summary_stats_dataIfEEEZNS1_11reduce_implILb1ES3_N6thrust23THRUST_200600_302600_NS11hip_rocprim26transform_input_iterator_tIS6_NSA_6detail15normal_iteratorINSA_10device_ptrIfEEEE22summary_stats_unary_opIfEEEPS6_S6_23summary_stats_binary_opIfEEE10hipError_tPvRmT1_T2_T3_mT4_P12ihipStream_tbEUlT_E1_NS1_11comp_targetILNS1_3genE4ELNS1_11target_archE910ELNS1_3gpuE8ELNS1_3repE0EEENS1_30default_config_static_selectorELNS0_4arch9wavefront6targetE0EEEvSR_.num_named_barrier, 0
	.set _ZN7rocprim17ROCPRIM_400000_NS6detail17trampoline_kernelINS0_14default_configENS1_22reduce_config_selectorI18summary_stats_dataIfEEEZNS1_11reduce_implILb1ES3_N6thrust23THRUST_200600_302600_NS11hip_rocprim26transform_input_iterator_tIS6_NSA_6detail15normal_iteratorINSA_10device_ptrIfEEEE22summary_stats_unary_opIfEEEPS6_S6_23summary_stats_binary_opIfEEE10hipError_tPvRmT1_T2_T3_mT4_P12ihipStream_tbEUlT_E1_NS1_11comp_targetILNS1_3genE4ELNS1_11target_archE910ELNS1_3gpuE8ELNS1_3repE0EEENS1_30default_config_static_selectorELNS0_4arch9wavefront6targetE0EEEvSR_.private_seg_size, 0
	.set _ZN7rocprim17ROCPRIM_400000_NS6detail17trampoline_kernelINS0_14default_configENS1_22reduce_config_selectorI18summary_stats_dataIfEEEZNS1_11reduce_implILb1ES3_N6thrust23THRUST_200600_302600_NS11hip_rocprim26transform_input_iterator_tIS6_NSA_6detail15normal_iteratorINSA_10device_ptrIfEEEE22summary_stats_unary_opIfEEEPS6_S6_23summary_stats_binary_opIfEEE10hipError_tPvRmT1_T2_T3_mT4_P12ihipStream_tbEUlT_E1_NS1_11comp_targetILNS1_3genE4ELNS1_11target_archE910ELNS1_3gpuE8ELNS1_3repE0EEENS1_30default_config_static_selectorELNS0_4arch9wavefront6targetE0EEEvSR_.uses_vcc, 0
	.set _ZN7rocprim17ROCPRIM_400000_NS6detail17trampoline_kernelINS0_14default_configENS1_22reduce_config_selectorI18summary_stats_dataIfEEEZNS1_11reduce_implILb1ES3_N6thrust23THRUST_200600_302600_NS11hip_rocprim26transform_input_iterator_tIS6_NSA_6detail15normal_iteratorINSA_10device_ptrIfEEEE22summary_stats_unary_opIfEEEPS6_S6_23summary_stats_binary_opIfEEE10hipError_tPvRmT1_T2_T3_mT4_P12ihipStream_tbEUlT_E1_NS1_11comp_targetILNS1_3genE4ELNS1_11target_archE910ELNS1_3gpuE8ELNS1_3repE0EEENS1_30default_config_static_selectorELNS0_4arch9wavefront6targetE0EEEvSR_.uses_flat_scratch, 0
	.set _ZN7rocprim17ROCPRIM_400000_NS6detail17trampoline_kernelINS0_14default_configENS1_22reduce_config_selectorI18summary_stats_dataIfEEEZNS1_11reduce_implILb1ES3_N6thrust23THRUST_200600_302600_NS11hip_rocprim26transform_input_iterator_tIS6_NSA_6detail15normal_iteratorINSA_10device_ptrIfEEEE22summary_stats_unary_opIfEEEPS6_S6_23summary_stats_binary_opIfEEE10hipError_tPvRmT1_T2_T3_mT4_P12ihipStream_tbEUlT_E1_NS1_11comp_targetILNS1_3genE4ELNS1_11target_archE910ELNS1_3gpuE8ELNS1_3repE0EEENS1_30default_config_static_selectorELNS0_4arch9wavefront6targetE0EEEvSR_.has_dyn_sized_stack, 0
	.set _ZN7rocprim17ROCPRIM_400000_NS6detail17trampoline_kernelINS0_14default_configENS1_22reduce_config_selectorI18summary_stats_dataIfEEEZNS1_11reduce_implILb1ES3_N6thrust23THRUST_200600_302600_NS11hip_rocprim26transform_input_iterator_tIS6_NSA_6detail15normal_iteratorINSA_10device_ptrIfEEEE22summary_stats_unary_opIfEEEPS6_S6_23summary_stats_binary_opIfEEE10hipError_tPvRmT1_T2_T3_mT4_P12ihipStream_tbEUlT_E1_NS1_11comp_targetILNS1_3genE4ELNS1_11target_archE910ELNS1_3gpuE8ELNS1_3repE0EEENS1_30default_config_static_selectorELNS0_4arch9wavefront6targetE0EEEvSR_.has_recursion, 0
	.set _ZN7rocprim17ROCPRIM_400000_NS6detail17trampoline_kernelINS0_14default_configENS1_22reduce_config_selectorI18summary_stats_dataIfEEEZNS1_11reduce_implILb1ES3_N6thrust23THRUST_200600_302600_NS11hip_rocprim26transform_input_iterator_tIS6_NSA_6detail15normal_iteratorINSA_10device_ptrIfEEEE22summary_stats_unary_opIfEEEPS6_S6_23summary_stats_binary_opIfEEE10hipError_tPvRmT1_T2_T3_mT4_P12ihipStream_tbEUlT_E1_NS1_11comp_targetILNS1_3genE4ELNS1_11target_archE910ELNS1_3gpuE8ELNS1_3repE0EEENS1_30default_config_static_selectorELNS0_4arch9wavefront6targetE0EEEvSR_.has_indirect_call, 0
	.section	.AMDGPU.csdata,"",@progbits
; Kernel info:
; codeLenInByte = 0
; TotalNumSgprs: 0
; NumVgprs: 0
; ScratchSize: 0
; MemoryBound: 0
; FloatMode: 240
; IeeeMode: 1
; LDSByteSize: 0 bytes/workgroup (compile time only)
; SGPRBlocks: 0
; VGPRBlocks: 0
; NumSGPRsForWavesPerEU: 1
; NumVGPRsForWavesPerEU: 1
; Occupancy: 16
; WaveLimiterHint : 0
; COMPUTE_PGM_RSRC2:SCRATCH_EN: 0
; COMPUTE_PGM_RSRC2:USER_SGPR: 6
; COMPUTE_PGM_RSRC2:TRAP_HANDLER: 0
; COMPUTE_PGM_RSRC2:TGID_X_EN: 1
; COMPUTE_PGM_RSRC2:TGID_Y_EN: 0
; COMPUTE_PGM_RSRC2:TGID_Z_EN: 0
; COMPUTE_PGM_RSRC2:TIDIG_COMP_CNT: 0
	.section	.text._ZN7rocprim17ROCPRIM_400000_NS6detail17trampoline_kernelINS0_14default_configENS1_22reduce_config_selectorI18summary_stats_dataIfEEEZNS1_11reduce_implILb1ES3_N6thrust23THRUST_200600_302600_NS11hip_rocprim26transform_input_iterator_tIS6_NSA_6detail15normal_iteratorINSA_10device_ptrIfEEEE22summary_stats_unary_opIfEEEPS6_S6_23summary_stats_binary_opIfEEE10hipError_tPvRmT1_T2_T3_mT4_P12ihipStream_tbEUlT_E1_NS1_11comp_targetILNS1_3genE3ELNS1_11target_archE908ELNS1_3gpuE7ELNS1_3repE0EEENS1_30default_config_static_selectorELNS0_4arch9wavefront6targetE0EEEvSR_,"axG",@progbits,_ZN7rocprim17ROCPRIM_400000_NS6detail17trampoline_kernelINS0_14default_configENS1_22reduce_config_selectorI18summary_stats_dataIfEEEZNS1_11reduce_implILb1ES3_N6thrust23THRUST_200600_302600_NS11hip_rocprim26transform_input_iterator_tIS6_NSA_6detail15normal_iteratorINSA_10device_ptrIfEEEE22summary_stats_unary_opIfEEEPS6_S6_23summary_stats_binary_opIfEEE10hipError_tPvRmT1_T2_T3_mT4_P12ihipStream_tbEUlT_E1_NS1_11comp_targetILNS1_3genE3ELNS1_11target_archE908ELNS1_3gpuE7ELNS1_3repE0EEENS1_30default_config_static_selectorELNS0_4arch9wavefront6targetE0EEEvSR_,comdat
	.protected	_ZN7rocprim17ROCPRIM_400000_NS6detail17trampoline_kernelINS0_14default_configENS1_22reduce_config_selectorI18summary_stats_dataIfEEEZNS1_11reduce_implILb1ES3_N6thrust23THRUST_200600_302600_NS11hip_rocprim26transform_input_iterator_tIS6_NSA_6detail15normal_iteratorINSA_10device_ptrIfEEEE22summary_stats_unary_opIfEEEPS6_S6_23summary_stats_binary_opIfEEE10hipError_tPvRmT1_T2_T3_mT4_P12ihipStream_tbEUlT_E1_NS1_11comp_targetILNS1_3genE3ELNS1_11target_archE908ELNS1_3gpuE7ELNS1_3repE0EEENS1_30default_config_static_selectorELNS0_4arch9wavefront6targetE0EEEvSR_ ; -- Begin function _ZN7rocprim17ROCPRIM_400000_NS6detail17trampoline_kernelINS0_14default_configENS1_22reduce_config_selectorI18summary_stats_dataIfEEEZNS1_11reduce_implILb1ES3_N6thrust23THRUST_200600_302600_NS11hip_rocprim26transform_input_iterator_tIS6_NSA_6detail15normal_iteratorINSA_10device_ptrIfEEEE22summary_stats_unary_opIfEEEPS6_S6_23summary_stats_binary_opIfEEE10hipError_tPvRmT1_T2_T3_mT4_P12ihipStream_tbEUlT_E1_NS1_11comp_targetILNS1_3genE3ELNS1_11target_archE908ELNS1_3gpuE7ELNS1_3repE0EEENS1_30default_config_static_selectorELNS0_4arch9wavefront6targetE0EEEvSR_
	.globl	_ZN7rocprim17ROCPRIM_400000_NS6detail17trampoline_kernelINS0_14default_configENS1_22reduce_config_selectorI18summary_stats_dataIfEEEZNS1_11reduce_implILb1ES3_N6thrust23THRUST_200600_302600_NS11hip_rocprim26transform_input_iterator_tIS6_NSA_6detail15normal_iteratorINSA_10device_ptrIfEEEE22summary_stats_unary_opIfEEEPS6_S6_23summary_stats_binary_opIfEEE10hipError_tPvRmT1_T2_T3_mT4_P12ihipStream_tbEUlT_E1_NS1_11comp_targetILNS1_3genE3ELNS1_11target_archE908ELNS1_3gpuE7ELNS1_3repE0EEENS1_30default_config_static_selectorELNS0_4arch9wavefront6targetE0EEEvSR_
	.p2align	8
	.type	_ZN7rocprim17ROCPRIM_400000_NS6detail17trampoline_kernelINS0_14default_configENS1_22reduce_config_selectorI18summary_stats_dataIfEEEZNS1_11reduce_implILb1ES3_N6thrust23THRUST_200600_302600_NS11hip_rocprim26transform_input_iterator_tIS6_NSA_6detail15normal_iteratorINSA_10device_ptrIfEEEE22summary_stats_unary_opIfEEEPS6_S6_23summary_stats_binary_opIfEEE10hipError_tPvRmT1_T2_T3_mT4_P12ihipStream_tbEUlT_E1_NS1_11comp_targetILNS1_3genE3ELNS1_11target_archE908ELNS1_3gpuE7ELNS1_3repE0EEENS1_30default_config_static_selectorELNS0_4arch9wavefront6targetE0EEEvSR_,@function
_ZN7rocprim17ROCPRIM_400000_NS6detail17trampoline_kernelINS0_14default_configENS1_22reduce_config_selectorI18summary_stats_dataIfEEEZNS1_11reduce_implILb1ES3_N6thrust23THRUST_200600_302600_NS11hip_rocprim26transform_input_iterator_tIS6_NSA_6detail15normal_iteratorINSA_10device_ptrIfEEEE22summary_stats_unary_opIfEEEPS6_S6_23summary_stats_binary_opIfEEE10hipError_tPvRmT1_T2_T3_mT4_P12ihipStream_tbEUlT_E1_NS1_11comp_targetILNS1_3genE3ELNS1_11target_archE908ELNS1_3gpuE7ELNS1_3repE0EEENS1_30default_config_static_selectorELNS0_4arch9wavefront6targetE0EEEvSR_: ; @_ZN7rocprim17ROCPRIM_400000_NS6detail17trampoline_kernelINS0_14default_configENS1_22reduce_config_selectorI18summary_stats_dataIfEEEZNS1_11reduce_implILb1ES3_N6thrust23THRUST_200600_302600_NS11hip_rocprim26transform_input_iterator_tIS6_NSA_6detail15normal_iteratorINSA_10device_ptrIfEEEE22summary_stats_unary_opIfEEEPS6_S6_23summary_stats_binary_opIfEEE10hipError_tPvRmT1_T2_T3_mT4_P12ihipStream_tbEUlT_E1_NS1_11comp_targetILNS1_3genE3ELNS1_11target_archE908ELNS1_3gpuE7ELNS1_3repE0EEENS1_30default_config_static_selectorELNS0_4arch9wavefront6targetE0EEEvSR_
; %bb.0:
	.section	.rodata,"a",@progbits
	.p2align	6, 0x0
	.amdhsa_kernel _ZN7rocprim17ROCPRIM_400000_NS6detail17trampoline_kernelINS0_14default_configENS1_22reduce_config_selectorI18summary_stats_dataIfEEEZNS1_11reduce_implILb1ES3_N6thrust23THRUST_200600_302600_NS11hip_rocprim26transform_input_iterator_tIS6_NSA_6detail15normal_iteratorINSA_10device_ptrIfEEEE22summary_stats_unary_opIfEEEPS6_S6_23summary_stats_binary_opIfEEE10hipError_tPvRmT1_T2_T3_mT4_P12ihipStream_tbEUlT_E1_NS1_11comp_targetILNS1_3genE3ELNS1_11target_archE908ELNS1_3gpuE7ELNS1_3repE0EEENS1_30default_config_static_selectorELNS0_4arch9wavefront6targetE0EEEvSR_
		.amdhsa_group_segment_fixed_size 0
		.amdhsa_private_segment_fixed_size 0
		.amdhsa_kernarg_size 72
		.amdhsa_user_sgpr_count 6
		.amdhsa_user_sgpr_private_segment_buffer 1
		.amdhsa_user_sgpr_dispatch_ptr 0
		.amdhsa_user_sgpr_queue_ptr 0
		.amdhsa_user_sgpr_kernarg_segment_ptr 1
		.amdhsa_user_sgpr_dispatch_id 0
		.amdhsa_user_sgpr_flat_scratch_init 0
		.amdhsa_user_sgpr_private_segment_size 0
		.amdhsa_wavefront_size32 1
		.amdhsa_uses_dynamic_stack 0
		.amdhsa_system_sgpr_private_segment_wavefront_offset 0
		.amdhsa_system_sgpr_workgroup_id_x 1
		.amdhsa_system_sgpr_workgroup_id_y 0
		.amdhsa_system_sgpr_workgroup_id_z 0
		.amdhsa_system_sgpr_workgroup_info 0
		.amdhsa_system_vgpr_workitem_id 0
		.amdhsa_next_free_vgpr 1
		.amdhsa_next_free_sgpr 1
		.amdhsa_reserve_vcc 0
		.amdhsa_reserve_flat_scratch 0
		.amdhsa_float_round_mode_32 0
		.amdhsa_float_round_mode_16_64 0
		.amdhsa_float_denorm_mode_32 3
		.amdhsa_float_denorm_mode_16_64 3
		.amdhsa_dx10_clamp 1
		.amdhsa_ieee_mode 1
		.amdhsa_fp16_overflow 0
		.amdhsa_workgroup_processor_mode 1
		.amdhsa_memory_ordered 1
		.amdhsa_forward_progress 1
		.amdhsa_shared_vgpr_count 0
		.amdhsa_exception_fp_ieee_invalid_op 0
		.amdhsa_exception_fp_denorm_src 0
		.amdhsa_exception_fp_ieee_div_zero 0
		.amdhsa_exception_fp_ieee_overflow 0
		.amdhsa_exception_fp_ieee_underflow 0
		.amdhsa_exception_fp_ieee_inexact 0
		.amdhsa_exception_int_div_zero 0
	.end_amdhsa_kernel
	.section	.text._ZN7rocprim17ROCPRIM_400000_NS6detail17trampoline_kernelINS0_14default_configENS1_22reduce_config_selectorI18summary_stats_dataIfEEEZNS1_11reduce_implILb1ES3_N6thrust23THRUST_200600_302600_NS11hip_rocprim26transform_input_iterator_tIS6_NSA_6detail15normal_iteratorINSA_10device_ptrIfEEEE22summary_stats_unary_opIfEEEPS6_S6_23summary_stats_binary_opIfEEE10hipError_tPvRmT1_T2_T3_mT4_P12ihipStream_tbEUlT_E1_NS1_11comp_targetILNS1_3genE3ELNS1_11target_archE908ELNS1_3gpuE7ELNS1_3repE0EEENS1_30default_config_static_selectorELNS0_4arch9wavefront6targetE0EEEvSR_,"axG",@progbits,_ZN7rocprim17ROCPRIM_400000_NS6detail17trampoline_kernelINS0_14default_configENS1_22reduce_config_selectorI18summary_stats_dataIfEEEZNS1_11reduce_implILb1ES3_N6thrust23THRUST_200600_302600_NS11hip_rocprim26transform_input_iterator_tIS6_NSA_6detail15normal_iteratorINSA_10device_ptrIfEEEE22summary_stats_unary_opIfEEEPS6_S6_23summary_stats_binary_opIfEEE10hipError_tPvRmT1_T2_T3_mT4_P12ihipStream_tbEUlT_E1_NS1_11comp_targetILNS1_3genE3ELNS1_11target_archE908ELNS1_3gpuE7ELNS1_3repE0EEENS1_30default_config_static_selectorELNS0_4arch9wavefront6targetE0EEEvSR_,comdat
.Lfunc_end30:
	.size	_ZN7rocprim17ROCPRIM_400000_NS6detail17trampoline_kernelINS0_14default_configENS1_22reduce_config_selectorI18summary_stats_dataIfEEEZNS1_11reduce_implILb1ES3_N6thrust23THRUST_200600_302600_NS11hip_rocprim26transform_input_iterator_tIS6_NSA_6detail15normal_iteratorINSA_10device_ptrIfEEEE22summary_stats_unary_opIfEEEPS6_S6_23summary_stats_binary_opIfEEE10hipError_tPvRmT1_T2_T3_mT4_P12ihipStream_tbEUlT_E1_NS1_11comp_targetILNS1_3genE3ELNS1_11target_archE908ELNS1_3gpuE7ELNS1_3repE0EEENS1_30default_config_static_selectorELNS0_4arch9wavefront6targetE0EEEvSR_, .Lfunc_end30-_ZN7rocprim17ROCPRIM_400000_NS6detail17trampoline_kernelINS0_14default_configENS1_22reduce_config_selectorI18summary_stats_dataIfEEEZNS1_11reduce_implILb1ES3_N6thrust23THRUST_200600_302600_NS11hip_rocprim26transform_input_iterator_tIS6_NSA_6detail15normal_iteratorINSA_10device_ptrIfEEEE22summary_stats_unary_opIfEEEPS6_S6_23summary_stats_binary_opIfEEE10hipError_tPvRmT1_T2_T3_mT4_P12ihipStream_tbEUlT_E1_NS1_11comp_targetILNS1_3genE3ELNS1_11target_archE908ELNS1_3gpuE7ELNS1_3repE0EEENS1_30default_config_static_selectorELNS0_4arch9wavefront6targetE0EEEvSR_
                                        ; -- End function
	.set _ZN7rocprim17ROCPRIM_400000_NS6detail17trampoline_kernelINS0_14default_configENS1_22reduce_config_selectorI18summary_stats_dataIfEEEZNS1_11reduce_implILb1ES3_N6thrust23THRUST_200600_302600_NS11hip_rocprim26transform_input_iterator_tIS6_NSA_6detail15normal_iteratorINSA_10device_ptrIfEEEE22summary_stats_unary_opIfEEEPS6_S6_23summary_stats_binary_opIfEEE10hipError_tPvRmT1_T2_T3_mT4_P12ihipStream_tbEUlT_E1_NS1_11comp_targetILNS1_3genE3ELNS1_11target_archE908ELNS1_3gpuE7ELNS1_3repE0EEENS1_30default_config_static_selectorELNS0_4arch9wavefront6targetE0EEEvSR_.num_vgpr, 0
	.set _ZN7rocprim17ROCPRIM_400000_NS6detail17trampoline_kernelINS0_14default_configENS1_22reduce_config_selectorI18summary_stats_dataIfEEEZNS1_11reduce_implILb1ES3_N6thrust23THRUST_200600_302600_NS11hip_rocprim26transform_input_iterator_tIS6_NSA_6detail15normal_iteratorINSA_10device_ptrIfEEEE22summary_stats_unary_opIfEEEPS6_S6_23summary_stats_binary_opIfEEE10hipError_tPvRmT1_T2_T3_mT4_P12ihipStream_tbEUlT_E1_NS1_11comp_targetILNS1_3genE3ELNS1_11target_archE908ELNS1_3gpuE7ELNS1_3repE0EEENS1_30default_config_static_selectorELNS0_4arch9wavefront6targetE0EEEvSR_.num_agpr, 0
	.set _ZN7rocprim17ROCPRIM_400000_NS6detail17trampoline_kernelINS0_14default_configENS1_22reduce_config_selectorI18summary_stats_dataIfEEEZNS1_11reduce_implILb1ES3_N6thrust23THRUST_200600_302600_NS11hip_rocprim26transform_input_iterator_tIS6_NSA_6detail15normal_iteratorINSA_10device_ptrIfEEEE22summary_stats_unary_opIfEEEPS6_S6_23summary_stats_binary_opIfEEE10hipError_tPvRmT1_T2_T3_mT4_P12ihipStream_tbEUlT_E1_NS1_11comp_targetILNS1_3genE3ELNS1_11target_archE908ELNS1_3gpuE7ELNS1_3repE0EEENS1_30default_config_static_selectorELNS0_4arch9wavefront6targetE0EEEvSR_.numbered_sgpr, 0
	.set _ZN7rocprim17ROCPRIM_400000_NS6detail17trampoline_kernelINS0_14default_configENS1_22reduce_config_selectorI18summary_stats_dataIfEEEZNS1_11reduce_implILb1ES3_N6thrust23THRUST_200600_302600_NS11hip_rocprim26transform_input_iterator_tIS6_NSA_6detail15normal_iteratorINSA_10device_ptrIfEEEE22summary_stats_unary_opIfEEEPS6_S6_23summary_stats_binary_opIfEEE10hipError_tPvRmT1_T2_T3_mT4_P12ihipStream_tbEUlT_E1_NS1_11comp_targetILNS1_3genE3ELNS1_11target_archE908ELNS1_3gpuE7ELNS1_3repE0EEENS1_30default_config_static_selectorELNS0_4arch9wavefront6targetE0EEEvSR_.num_named_barrier, 0
	.set _ZN7rocprim17ROCPRIM_400000_NS6detail17trampoline_kernelINS0_14default_configENS1_22reduce_config_selectorI18summary_stats_dataIfEEEZNS1_11reduce_implILb1ES3_N6thrust23THRUST_200600_302600_NS11hip_rocprim26transform_input_iterator_tIS6_NSA_6detail15normal_iteratorINSA_10device_ptrIfEEEE22summary_stats_unary_opIfEEEPS6_S6_23summary_stats_binary_opIfEEE10hipError_tPvRmT1_T2_T3_mT4_P12ihipStream_tbEUlT_E1_NS1_11comp_targetILNS1_3genE3ELNS1_11target_archE908ELNS1_3gpuE7ELNS1_3repE0EEENS1_30default_config_static_selectorELNS0_4arch9wavefront6targetE0EEEvSR_.private_seg_size, 0
	.set _ZN7rocprim17ROCPRIM_400000_NS6detail17trampoline_kernelINS0_14default_configENS1_22reduce_config_selectorI18summary_stats_dataIfEEEZNS1_11reduce_implILb1ES3_N6thrust23THRUST_200600_302600_NS11hip_rocprim26transform_input_iterator_tIS6_NSA_6detail15normal_iteratorINSA_10device_ptrIfEEEE22summary_stats_unary_opIfEEEPS6_S6_23summary_stats_binary_opIfEEE10hipError_tPvRmT1_T2_T3_mT4_P12ihipStream_tbEUlT_E1_NS1_11comp_targetILNS1_3genE3ELNS1_11target_archE908ELNS1_3gpuE7ELNS1_3repE0EEENS1_30default_config_static_selectorELNS0_4arch9wavefront6targetE0EEEvSR_.uses_vcc, 0
	.set _ZN7rocprim17ROCPRIM_400000_NS6detail17trampoline_kernelINS0_14default_configENS1_22reduce_config_selectorI18summary_stats_dataIfEEEZNS1_11reduce_implILb1ES3_N6thrust23THRUST_200600_302600_NS11hip_rocprim26transform_input_iterator_tIS6_NSA_6detail15normal_iteratorINSA_10device_ptrIfEEEE22summary_stats_unary_opIfEEEPS6_S6_23summary_stats_binary_opIfEEE10hipError_tPvRmT1_T2_T3_mT4_P12ihipStream_tbEUlT_E1_NS1_11comp_targetILNS1_3genE3ELNS1_11target_archE908ELNS1_3gpuE7ELNS1_3repE0EEENS1_30default_config_static_selectorELNS0_4arch9wavefront6targetE0EEEvSR_.uses_flat_scratch, 0
	.set _ZN7rocprim17ROCPRIM_400000_NS6detail17trampoline_kernelINS0_14default_configENS1_22reduce_config_selectorI18summary_stats_dataIfEEEZNS1_11reduce_implILb1ES3_N6thrust23THRUST_200600_302600_NS11hip_rocprim26transform_input_iterator_tIS6_NSA_6detail15normal_iteratorINSA_10device_ptrIfEEEE22summary_stats_unary_opIfEEEPS6_S6_23summary_stats_binary_opIfEEE10hipError_tPvRmT1_T2_T3_mT4_P12ihipStream_tbEUlT_E1_NS1_11comp_targetILNS1_3genE3ELNS1_11target_archE908ELNS1_3gpuE7ELNS1_3repE0EEENS1_30default_config_static_selectorELNS0_4arch9wavefront6targetE0EEEvSR_.has_dyn_sized_stack, 0
	.set _ZN7rocprim17ROCPRIM_400000_NS6detail17trampoline_kernelINS0_14default_configENS1_22reduce_config_selectorI18summary_stats_dataIfEEEZNS1_11reduce_implILb1ES3_N6thrust23THRUST_200600_302600_NS11hip_rocprim26transform_input_iterator_tIS6_NSA_6detail15normal_iteratorINSA_10device_ptrIfEEEE22summary_stats_unary_opIfEEEPS6_S6_23summary_stats_binary_opIfEEE10hipError_tPvRmT1_T2_T3_mT4_P12ihipStream_tbEUlT_E1_NS1_11comp_targetILNS1_3genE3ELNS1_11target_archE908ELNS1_3gpuE7ELNS1_3repE0EEENS1_30default_config_static_selectorELNS0_4arch9wavefront6targetE0EEEvSR_.has_recursion, 0
	.set _ZN7rocprim17ROCPRIM_400000_NS6detail17trampoline_kernelINS0_14default_configENS1_22reduce_config_selectorI18summary_stats_dataIfEEEZNS1_11reduce_implILb1ES3_N6thrust23THRUST_200600_302600_NS11hip_rocprim26transform_input_iterator_tIS6_NSA_6detail15normal_iteratorINSA_10device_ptrIfEEEE22summary_stats_unary_opIfEEEPS6_S6_23summary_stats_binary_opIfEEE10hipError_tPvRmT1_T2_T3_mT4_P12ihipStream_tbEUlT_E1_NS1_11comp_targetILNS1_3genE3ELNS1_11target_archE908ELNS1_3gpuE7ELNS1_3repE0EEENS1_30default_config_static_selectorELNS0_4arch9wavefront6targetE0EEEvSR_.has_indirect_call, 0
	.section	.AMDGPU.csdata,"",@progbits
; Kernel info:
; codeLenInByte = 0
; TotalNumSgprs: 0
; NumVgprs: 0
; ScratchSize: 0
; MemoryBound: 0
; FloatMode: 240
; IeeeMode: 1
; LDSByteSize: 0 bytes/workgroup (compile time only)
; SGPRBlocks: 0
; VGPRBlocks: 0
; NumSGPRsForWavesPerEU: 1
; NumVGPRsForWavesPerEU: 1
; Occupancy: 16
; WaveLimiterHint : 0
; COMPUTE_PGM_RSRC2:SCRATCH_EN: 0
; COMPUTE_PGM_RSRC2:USER_SGPR: 6
; COMPUTE_PGM_RSRC2:TRAP_HANDLER: 0
; COMPUTE_PGM_RSRC2:TGID_X_EN: 1
; COMPUTE_PGM_RSRC2:TGID_Y_EN: 0
; COMPUTE_PGM_RSRC2:TGID_Z_EN: 0
; COMPUTE_PGM_RSRC2:TIDIG_COMP_CNT: 0
	.section	.text._ZN7rocprim17ROCPRIM_400000_NS6detail17trampoline_kernelINS0_14default_configENS1_22reduce_config_selectorI18summary_stats_dataIfEEEZNS1_11reduce_implILb1ES3_N6thrust23THRUST_200600_302600_NS11hip_rocprim26transform_input_iterator_tIS6_NSA_6detail15normal_iteratorINSA_10device_ptrIfEEEE22summary_stats_unary_opIfEEEPS6_S6_23summary_stats_binary_opIfEEE10hipError_tPvRmT1_T2_T3_mT4_P12ihipStream_tbEUlT_E1_NS1_11comp_targetILNS1_3genE2ELNS1_11target_archE906ELNS1_3gpuE6ELNS1_3repE0EEENS1_30default_config_static_selectorELNS0_4arch9wavefront6targetE0EEEvSR_,"axG",@progbits,_ZN7rocprim17ROCPRIM_400000_NS6detail17trampoline_kernelINS0_14default_configENS1_22reduce_config_selectorI18summary_stats_dataIfEEEZNS1_11reduce_implILb1ES3_N6thrust23THRUST_200600_302600_NS11hip_rocprim26transform_input_iterator_tIS6_NSA_6detail15normal_iteratorINSA_10device_ptrIfEEEE22summary_stats_unary_opIfEEEPS6_S6_23summary_stats_binary_opIfEEE10hipError_tPvRmT1_T2_T3_mT4_P12ihipStream_tbEUlT_E1_NS1_11comp_targetILNS1_3genE2ELNS1_11target_archE906ELNS1_3gpuE6ELNS1_3repE0EEENS1_30default_config_static_selectorELNS0_4arch9wavefront6targetE0EEEvSR_,comdat
	.protected	_ZN7rocprim17ROCPRIM_400000_NS6detail17trampoline_kernelINS0_14default_configENS1_22reduce_config_selectorI18summary_stats_dataIfEEEZNS1_11reduce_implILb1ES3_N6thrust23THRUST_200600_302600_NS11hip_rocprim26transform_input_iterator_tIS6_NSA_6detail15normal_iteratorINSA_10device_ptrIfEEEE22summary_stats_unary_opIfEEEPS6_S6_23summary_stats_binary_opIfEEE10hipError_tPvRmT1_T2_T3_mT4_P12ihipStream_tbEUlT_E1_NS1_11comp_targetILNS1_3genE2ELNS1_11target_archE906ELNS1_3gpuE6ELNS1_3repE0EEENS1_30default_config_static_selectorELNS0_4arch9wavefront6targetE0EEEvSR_ ; -- Begin function _ZN7rocprim17ROCPRIM_400000_NS6detail17trampoline_kernelINS0_14default_configENS1_22reduce_config_selectorI18summary_stats_dataIfEEEZNS1_11reduce_implILb1ES3_N6thrust23THRUST_200600_302600_NS11hip_rocprim26transform_input_iterator_tIS6_NSA_6detail15normal_iteratorINSA_10device_ptrIfEEEE22summary_stats_unary_opIfEEEPS6_S6_23summary_stats_binary_opIfEEE10hipError_tPvRmT1_T2_T3_mT4_P12ihipStream_tbEUlT_E1_NS1_11comp_targetILNS1_3genE2ELNS1_11target_archE906ELNS1_3gpuE6ELNS1_3repE0EEENS1_30default_config_static_selectorELNS0_4arch9wavefront6targetE0EEEvSR_
	.globl	_ZN7rocprim17ROCPRIM_400000_NS6detail17trampoline_kernelINS0_14default_configENS1_22reduce_config_selectorI18summary_stats_dataIfEEEZNS1_11reduce_implILb1ES3_N6thrust23THRUST_200600_302600_NS11hip_rocprim26transform_input_iterator_tIS6_NSA_6detail15normal_iteratorINSA_10device_ptrIfEEEE22summary_stats_unary_opIfEEEPS6_S6_23summary_stats_binary_opIfEEE10hipError_tPvRmT1_T2_T3_mT4_P12ihipStream_tbEUlT_E1_NS1_11comp_targetILNS1_3genE2ELNS1_11target_archE906ELNS1_3gpuE6ELNS1_3repE0EEENS1_30default_config_static_selectorELNS0_4arch9wavefront6targetE0EEEvSR_
	.p2align	8
	.type	_ZN7rocprim17ROCPRIM_400000_NS6detail17trampoline_kernelINS0_14default_configENS1_22reduce_config_selectorI18summary_stats_dataIfEEEZNS1_11reduce_implILb1ES3_N6thrust23THRUST_200600_302600_NS11hip_rocprim26transform_input_iterator_tIS6_NSA_6detail15normal_iteratorINSA_10device_ptrIfEEEE22summary_stats_unary_opIfEEEPS6_S6_23summary_stats_binary_opIfEEE10hipError_tPvRmT1_T2_T3_mT4_P12ihipStream_tbEUlT_E1_NS1_11comp_targetILNS1_3genE2ELNS1_11target_archE906ELNS1_3gpuE6ELNS1_3repE0EEENS1_30default_config_static_selectorELNS0_4arch9wavefront6targetE0EEEvSR_,@function
_ZN7rocprim17ROCPRIM_400000_NS6detail17trampoline_kernelINS0_14default_configENS1_22reduce_config_selectorI18summary_stats_dataIfEEEZNS1_11reduce_implILb1ES3_N6thrust23THRUST_200600_302600_NS11hip_rocprim26transform_input_iterator_tIS6_NSA_6detail15normal_iteratorINSA_10device_ptrIfEEEE22summary_stats_unary_opIfEEEPS6_S6_23summary_stats_binary_opIfEEE10hipError_tPvRmT1_T2_T3_mT4_P12ihipStream_tbEUlT_E1_NS1_11comp_targetILNS1_3genE2ELNS1_11target_archE906ELNS1_3gpuE6ELNS1_3repE0EEENS1_30default_config_static_selectorELNS0_4arch9wavefront6targetE0EEEvSR_: ; @_ZN7rocprim17ROCPRIM_400000_NS6detail17trampoline_kernelINS0_14default_configENS1_22reduce_config_selectorI18summary_stats_dataIfEEEZNS1_11reduce_implILb1ES3_N6thrust23THRUST_200600_302600_NS11hip_rocprim26transform_input_iterator_tIS6_NSA_6detail15normal_iteratorINSA_10device_ptrIfEEEE22summary_stats_unary_opIfEEEPS6_S6_23summary_stats_binary_opIfEEE10hipError_tPvRmT1_T2_T3_mT4_P12ihipStream_tbEUlT_E1_NS1_11comp_targetILNS1_3genE2ELNS1_11target_archE906ELNS1_3gpuE6ELNS1_3repE0EEENS1_30default_config_static_selectorELNS0_4arch9wavefront6targetE0EEEvSR_
; %bb.0:
	.section	.rodata,"a",@progbits
	.p2align	6, 0x0
	.amdhsa_kernel _ZN7rocprim17ROCPRIM_400000_NS6detail17trampoline_kernelINS0_14default_configENS1_22reduce_config_selectorI18summary_stats_dataIfEEEZNS1_11reduce_implILb1ES3_N6thrust23THRUST_200600_302600_NS11hip_rocprim26transform_input_iterator_tIS6_NSA_6detail15normal_iteratorINSA_10device_ptrIfEEEE22summary_stats_unary_opIfEEEPS6_S6_23summary_stats_binary_opIfEEE10hipError_tPvRmT1_T2_T3_mT4_P12ihipStream_tbEUlT_E1_NS1_11comp_targetILNS1_3genE2ELNS1_11target_archE906ELNS1_3gpuE6ELNS1_3repE0EEENS1_30default_config_static_selectorELNS0_4arch9wavefront6targetE0EEEvSR_
		.amdhsa_group_segment_fixed_size 0
		.amdhsa_private_segment_fixed_size 0
		.amdhsa_kernarg_size 72
		.amdhsa_user_sgpr_count 6
		.amdhsa_user_sgpr_private_segment_buffer 1
		.amdhsa_user_sgpr_dispatch_ptr 0
		.amdhsa_user_sgpr_queue_ptr 0
		.amdhsa_user_sgpr_kernarg_segment_ptr 1
		.amdhsa_user_sgpr_dispatch_id 0
		.amdhsa_user_sgpr_flat_scratch_init 0
		.amdhsa_user_sgpr_private_segment_size 0
		.amdhsa_wavefront_size32 1
		.amdhsa_uses_dynamic_stack 0
		.amdhsa_system_sgpr_private_segment_wavefront_offset 0
		.amdhsa_system_sgpr_workgroup_id_x 1
		.amdhsa_system_sgpr_workgroup_id_y 0
		.amdhsa_system_sgpr_workgroup_id_z 0
		.amdhsa_system_sgpr_workgroup_info 0
		.amdhsa_system_vgpr_workitem_id 0
		.amdhsa_next_free_vgpr 1
		.amdhsa_next_free_sgpr 1
		.amdhsa_reserve_vcc 0
		.amdhsa_reserve_flat_scratch 0
		.amdhsa_float_round_mode_32 0
		.amdhsa_float_round_mode_16_64 0
		.amdhsa_float_denorm_mode_32 3
		.amdhsa_float_denorm_mode_16_64 3
		.amdhsa_dx10_clamp 1
		.amdhsa_ieee_mode 1
		.amdhsa_fp16_overflow 0
		.amdhsa_workgroup_processor_mode 1
		.amdhsa_memory_ordered 1
		.amdhsa_forward_progress 1
		.amdhsa_shared_vgpr_count 0
		.amdhsa_exception_fp_ieee_invalid_op 0
		.amdhsa_exception_fp_denorm_src 0
		.amdhsa_exception_fp_ieee_div_zero 0
		.amdhsa_exception_fp_ieee_overflow 0
		.amdhsa_exception_fp_ieee_underflow 0
		.amdhsa_exception_fp_ieee_inexact 0
		.amdhsa_exception_int_div_zero 0
	.end_amdhsa_kernel
	.section	.text._ZN7rocprim17ROCPRIM_400000_NS6detail17trampoline_kernelINS0_14default_configENS1_22reduce_config_selectorI18summary_stats_dataIfEEEZNS1_11reduce_implILb1ES3_N6thrust23THRUST_200600_302600_NS11hip_rocprim26transform_input_iterator_tIS6_NSA_6detail15normal_iteratorINSA_10device_ptrIfEEEE22summary_stats_unary_opIfEEEPS6_S6_23summary_stats_binary_opIfEEE10hipError_tPvRmT1_T2_T3_mT4_P12ihipStream_tbEUlT_E1_NS1_11comp_targetILNS1_3genE2ELNS1_11target_archE906ELNS1_3gpuE6ELNS1_3repE0EEENS1_30default_config_static_selectorELNS0_4arch9wavefront6targetE0EEEvSR_,"axG",@progbits,_ZN7rocprim17ROCPRIM_400000_NS6detail17trampoline_kernelINS0_14default_configENS1_22reduce_config_selectorI18summary_stats_dataIfEEEZNS1_11reduce_implILb1ES3_N6thrust23THRUST_200600_302600_NS11hip_rocprim26transform_input_iterator_tIS6_NSA_6detail15normal_iteratorINSA_10device_ptrIfEEEE22summary_stats_unary_opIfEEEPS6_S6_23summary_stats_binary_opIfEEE10hipError_tPvRmT1_T2_T3_mT4_P12ihipStream_tbEUlT_E1_NS1_11comp_targetILNS1_3genE2ELNS1_11target_archE906ELNS1_3gpuE6ELNS1_3repE0EEENS1_30default_config_static_selectorELNS0_4arch9wavefront6targetE0EEEvSR_,comdat
.Lfunc_end31:
	.size	_ZN7rocprim17ROCPRIM_400000_NS6detail17trampoline_kernelINS0_14default_configENS1_22reduce_config_selectorI18summary_stats_dataIfEEEZNS1_11reduce_implILb1ES3_N6thrust23THRUST_200600_302600_NS11hip_rocprim26transform_input_iterator_tIS6_NSA_6detail15normal_iteratorINSA_10device_ptrIfEEEE22summary_stats_unary_opIfEEEPS6_S6_23summary_stats_binary_opIfEEE10hipError_tPvRmT1_T2_T3_mT4_P12ihipStream_tbEUlT_E1_NS1_11comp_targetILNS1_3genE2ELNS1_11target_archE906ELNS1_3gpuE6ELNS1_3repE0EEENS1_30default_config_static_selectorELNS0_4arch9wavefront6targetE0EEEvSR_, .Lfunc_end31-_ZN7rocprim17ROCPRIM_400000_NS6detail17trampoline_kernelINS0_14default_configENS1_22reduce_config_selectorI18summary_stats_dataIfEEEZNS1_11reduce_implILb1ES3_N6thrust23THRUST_200600_302600_NS11hip_rocprim26transform_input_iterator_tIS6_NSA_6detail15normal_iteratorINSA_10device_ptrIfEEEE22summary_stats_unary_opIfEEEPS6_S6_23summary_stats_binary_opIfEEE10hipError_tPvRmT1_T2_T3_mT4_P12ihipStream_tbEUlT_E1_NS1_11comp_targetILNS1_3genE2ELNS1_11target_archE906ELNS1_3gpuE6ELNS1_3repE0EEENS1_30default_config_static_selectorELNS0_4arch9wavefront6targetE0EEEvSR_
                                        ; -- End function
	.set _ZN7rocprim17ROCPRIM_400000_NS6detail17trampoline_kernelINS0_14default_configENS1_22reduce_config_selectorI18summary_stats_dataIfEEEZNS1_11reduce_implILb1ES3_N6thrust23THRUST_200600_302600_NS11hip_rocprim26transform_input_iterator_tIS6_NSA_6detail15normal_iteratorINSA_10device_ptrIfEEEE22summary_stats_unary_opIfEEEPS6_S6_23summary_stats_binary_opIfEEE10hipError_tPvRmT1_T2_T3_mT4_P12ihipStream_tbEUlT_E1_NS1_11comp_targetILNS1_3genE2ELNS1_11target_archE906ELNS1_3gpuE6ELNS1_3repE0EEENS1_30default_config_static_selectorELNS0_4arch9wavefront6targetE0EEEvSR_.num_vgpr, 0
	.set _ZN7rocprim17ROCPRIM_400000_NS6detail17trampoline_kernelINS0_14default_configENS1_22reduce_config_selectorI18summary_stats_dataIfEEEZNS1_11reduce_implILb1ES3_N6thrust23THRUST_200600_302600_NS11hip_rocprim26transform_input_iterator_tIS6_NSA_6detail15normal_iteratorINSA_10device_ptrIfEEEE22summary_stats_unary_opIfEEEPS6_S6_23summary_stats_binary_opIfEEE10hipError_tPvRmT1_T2_T3_mT4_P12ihipStream_tbEUlT_E1_NS1_11comp_targetILNS1_3genE2ELNS1_11target_archE906ELNS1_3gpuE6ELNS1_3repE0EEENS1_30default_config_static_selectorELNS0_4arch9wavefront6targetE0EEEvSR_.num_agpr, 0
	.set _ZN7rocprim17ROCPRIM_400000_NS6detail17trampoline_kernelINS0_14default_configENS1_22reduce_config_selectorI18summary_stats_dataIfEEEZNS1_11reduce_implILb1ES3_N6thrust23THRUST_200600_302600_NS11hip_rocprim26transform_input_iterator_tIS6_NSA_6detail15normal_iteratorINSA_10device_ptrIfEEEE22summary_stats_unary_opIfEEEPS6_S6_23summary_stats_binary_opIfEEE10hipError_tPvRmT1_T2_T3_mT4_P12ihipStream_tbEUlT_E1_NS1_11comp_targetILNS1_3genE2ELNS1_11target_archE906ELNS1_3gpuE6ELNS1_3repE0EEENS1_30default_config_static_selectorELNS0_4arch9wavefront6targetE0EEEvSR_.numbered_sgpr, 0
	.set _ZN7rocprim17ROCPRIM_400000_NS6detail17trampoline_kernelINS0_14default_configENS1_22reduce_config_selectorI18summary_stats_dataIfEEEZNS1_11reduce_implILb1ES3_N6thrust23THRUST_200600_302600_NS11hip_rocprim26transform_input_iterator_tIS6_NSA_6detail15normal_iteratorINSA_10device_ptrIfEEEE22summary_stats_unary_opIfEEEPS6_S6_23summary_stats_binary_opIfEEE10hipError_tPvRmT1_T2_T3_mT4_P12ihipStream_tbEUlT_E1_NS1_11comp_targetILNS1_3genE2ELNS1_11target_archE906ELNS1_3gpuE6ELNS1_3repE0EEENS1_30default_config_static_selectorELNS0_4arch9wavefront6targetE0EEEvSR_.num_named_barrier, 0
	.set _ZN7rocprim17ROCPRIM_400000_NS6detail17trampoline_kernelINS0_14default_configENS1_22reduce_config_selectorI18summary_stats_dataIfEEEZNS1_11reduce_implILb1ES3_N6thrust23THRUST_200600_302600_NS11hip_rocprim26transform_input_iterator_tIS6_NSA_6detail15normal_iteratorINSA_10device_ptrIfEEEE22summary_stats_unary_opIfEEEPS6_S6_23summary_stats_binary_opIfEEE10hipError_tPvRmT1_T2_T3_mT4_P12ihipStream_tbEUlT_E1_NS1_11comp_targetILNS1_3genE2ELNS1_11target_archE906ELNS1_3gpuE6ELNS1_3repE0EEENS1_30default_config_static_selectorELNS0_4arch9wavefront6targetE0EEEvSR_.private_seg_size, 0
	.set _ZN7rocprim17ROCPRIM_400000_NS6detail17trampoline_kernelINS0_14default_configENS1_22reduce_config_selectorI18summary_stats_dataIfEEEZNS1_11reduce_implILb1ES3_N6thrust23THRUST_200600_302600_NS11hip_rocprim26transform_input_iterator_tIS6_NSA_6detail15normal_iteratorINSA_10device_ptrIfEEEE22summary_stats_unary_opIfEEEPS6_S6_23summary_stats_binary_opIfEEE10hipError_tPvRmT1_T2_T3_mT4_P12ihipStream_tbEUlT_E1_NS1_11comp_targetILNS1_3genE2ELNS1_11target_archE906ELNS1_3gpuE6ELNS1_3repE0EEENS1_30default_config_static_selectorELNS0_4arch9wavefront6targetE0EEEvSR_.uses_vcc, 0
	.set _ZN7rocprim17ROCPRIM_400000_NS6detail17trampoline_kernelINS0_14default_configENS1_22reduce_config_selectorI18summary_stats_dataIfEEEZNS1_11reduce_implILb1ES3_N6thrust23THRUST_200600_302600_NS11hip_rocprim26transform_input_iterator_tIS6_NSA_6detail15normal_iteratorINSA_10device_ptrIfEEEE22summary_stats_unary_opIfEEEPS6_S6_23summary_stats_binary_opIfEEE10hipError_tPvRmT1_T2_T3_mT4_P12ihipStream_tbEUlT_E1_NS1_11comp_targetILNS1_3genE2ELNS1_11target_archE906ELNS1_3gpuE6ELNS1_3repE0EEENS1_30default_config_static_selectorELNS0_4arch9wavefront6targetE0EEEvSR_.uses_flat_scratch, 0
	.set _ZN7rocprim17ROCPRIM_400000_NS6detail17trampoline_kernelINS0_14default_configENS1_22reduce_config_selectorI18summary_stats_dataIfEEEZNS1_11reduce_implILb1ES3_N6thrust23THRUST_200600_302600_NS11hip_rocprim26transform_input_iterator_tIS6_NSA_6detail15normal_iteratorINSA_10device_ptrIfEEEE22summary_stats_unary_opIfEEEPS6_S6_23summary_stats_binary_opIfEEE10hipError_tPvRmT1_T2_T3_mT4_P12ihipStream_tbEUlT_E1_NS1_11comp_targetILNS1_3genE2ELNS1_11target_archE906ELNS1_3gpuE6ELNS1_3repE0EEENS1_30default_config_static_selectorELNS0_4arch9wavefront6targetE0EEEvSR_.has_dyn_sized_stack, 0
	.set _ZN7rocprim17ROCPRIM_400000_NS6detail17trampoline_kernelINS0_14default_configENS1_22reduce_config_selectorI18summary_stats_dataIfEEEZNS1_11reduce_implILb1ES3_N6thrust23THRUST_200600_302600_NS11hip_rocprim26transform_input_iterator_tIS6_NSA_6detail15normal_iteratorINSA_10device_ptrIfEEEE22summary_stats_unary_opIfEEEPS6_S6_23summary_stats_binary_opIfEEE10hipError_tPvRmT1_T2_T3_mT4_P12ihipStream_tbEUlT_E1_NS1_11comp_targetILNS1_3genE2ELNS1_11target_archE906ELNS1_3gpuE6ELNS1_3repE0EEENS1_30default_config_static_selectorELNS0_4arch9wavefront6targetE0EEEvSR_.has_recursion, 0
	.set _ZN7rocprim17ROCPRIM_400000_NS6detail17trampoline_kernelINS0_14default_configENS1_22reduce_config_selectorI18summary_stats_dataIfEEEZNS1_11reduce_implILb1ES3_N6thrust23THRUST_200600_302600_NS11hip_rocprim26transform_input_iterator_tIS6_NSA_6detail15normal_iteratorINSA_10device_ptrIfEEEE22summary_stats_unary_opIfEEEPS6_S6_23summary_stats_binary_opIfEEE10hipError_tPvRmT1_T2_T3_mT4_P12ihipStream_tbEUlT_E1_NS1_11comp_targetILNS1_3genE2ELNS1_11target_archE906ELNS1_3gpuE6ELNS1_3repE0EEENS1_30default_config_static_selectorELNS0_4arch9wavefront6targetE0EEEvSR_.has_indirect_call, 0
	.section	.AMDGPU.csdata,"",@progbits
; Kernel info:
; codeLenInByte = 0
; TotalNumSgprs: 0
; NumVgprs: 0
; ScratchSize: 0
; MemoryBound: 0
; FloatMode: 240
; IeeeMode: 1
; LDSByteSize: 0 bytes/workgroup (compile time only)
; SGPRBlocks: 0
; VGPRBlocks: 0
; NumSGPRsForWavesPerEU: 1
; NumVGPRsForWavesPerEU: 1
; Occupancy: 16
; WaveLimiterHint : 0
; COMPUTE_PGM_RSRC2:SCRATCH_EN: 0
; COMPUTE_PGM_RSRC2:USER_SGPR: 6
; COMPUTE_PGM_RSRC2:TRAP_HANDLER: 0
; COMPUTE_PGM_RSRC2:TGID_X_EN: 1
; COMPUTE_PGM_RSRC2:TGID_Y_EN: 0
; COMPUTE_PGM_RSRC2:TGID_Z_EN: 0
; COMPUTE_PGM_RSRC2:TIDIG_COMP_CNT: 0
	.section	.text._ZN7rocprim17ROCPRIM_400000_NS6detail17trampoline_kernelINS0_14default_configENS1_22reduce_config_selectorI18summary_stats_dataIfEEEZNS1_11reduce_implILb1ES3_N6thrust23THRUST_200600_302600_NS11hip_rocprim26transform_input_iterator_tIS6_NSA_6detail15normal_iteratorINSA_10device_ptrIfEEEE22summary_stats_unary_opIfEEEPS6_S6_23summary_stats_binary_opIfEEE10hipError_tPvRmT1_T2_T3_mT4_P12ihipStream_tbEUlT_E1_NS1_11comp_targetILNS1_3genE10ELNS1_11target_archE1201ELNS1_3gpuE5ELNS1_3repE0EEENS1_30default_config_static_selectorELNS0_4arch9wavefront6targetE0EEEvSR_,"axG",@progbits,_ZN7rocprim17ROCPRIM_400000_NS6detail17trampoline_kernelINS0_14default_configENS1_22reduce_config_selectorI18summary_stats_dataIfEEEZNS1_11reduce_implILb1ES3_N6thrust23THRUST_200600_302600_NS11hip_rocprim26transform_input_iterator_tIS6_NSA_6detail15normal_iteratorINSA_10device_ptrIfEEEE22summary_stats_unary_opIfEEEPS6_S6_23summary_stats_binary_opIfEEE10hipError_tPvRmT1_T2_T3_mT4_P12ihipStream_tbEUlT_E1_NS1_11comp_targetILNS1_3genE10ELNS1_11target_archE1201ELNS1_3gpuE5ELNS1_3repE0EEENS1_30default_config_static_selectorELNS0_4arch9wavefront6targetE0EEEvSR_,comdat
	.protected	_ZN7rocprim17ROCPRIM_400000_NS6detail17trampoline_kernelINS0_14default_configENS1_22reduce_config_selectorI18summary_stats_dataIfEEEZNS1_11reduce_implILb1ES3_N6thrust23THRUST_200600_302600_NS11hip_rocprim26transform_input_iterator_tIS6_NSA_6detail15normal_iteratorINSA_10device_ptrIfEEEE22summary_stats_unary_opIfEEEPS6_S6_23summary_stats_binary_opIfEEE10hipError_tPvRmT1_T2_T3_mT4_P12ihipStream_tbEUlT_E1_NS1_11comp_targetILNS1_3genE10ELNS1_11target_archE1201ELNS1_3gpuE5ELNS1_3repE0EEENS1_30default_config_static_selectorELNS0_4arch9wavefront6targetE0EEEvSR_ ; -- Begin function _ZN7rocprim17ROCPRIM_400000_NS6detail17trampoline_kernelINS0_14default_configENS1_22reduce_config_selectorI18summary_stats_dataIfEEEZNS1_11reduce_implILb1ES3_N6thrust23THRUST_200600_302600_NS11hip_rocprim26transform_input_iterator_tIS6_NSA_6detail15normal_iteratorINSA_10device_ptrIfEEEE22summary_stats_unary_opIfEEEPS6_S6_23summary_stats_binary_opIfEEE10hipError_tPvRmT1_T2_T3_mT4_P12ihipStream_tbEUlT_E1_NS1_11comp_targetILNS1_3genE10ELNS1_11target_archE1201ELNS1_3gpuE5ELNS1_3repE0EEENS1_30default_config_static_selectorELNS0_4arch9wavefront6targetE0EEEvSR_
	.globl	_ZN7rocprim17ROCPRIM_400000_NS6detail17trampoline_kernelINS0_14default_configENS1_22reduce_config_selectorI18summary_stats_dataIfEEEZNS1_11reduce_implILb1ES3_N6thrust23THRUST_200600_302600_NS11hip_rocprim26transform_input_iterator_tIS6_NSA_6detail15normal_iteratorINSA_10device_ptrIfEEEE22summary_stats_unary_opIfEEEPS6_S6_23summary_stats_binary_opIfEEE10hipError_tPvRmT1_T2_T3_mT4_P12ihipStream_tbEUlT_E1_NS1_11comp_targetILNS1_3genE10ELNS1_11target_archE1201ELNS1_3gpuE5ELNS1_3repE0EEENS1_30default_config_static_selectorELNS0_4arch9wavefront6targetE0EEEvSR_
	.p2align	8
	.type	_ZN7rocprim17ROCPRIM_400000_NS6detail17trampoline_kernelINS0_14default_configENS1_22reduce_config_selectorI18summary_stats_dataIfEEEZNS1_11reduce_implILb1ES3_N6thrust23THRUST_200600_302600_NS11hip_rocprim26transform_input_iterator_tIS6_NSA_6detail15normal_iteratorINSA_10device_ptrIfEEEE22summary_stats_unary_opIfEEEPS6_S6_23summary_stats_binary_opIfEEE10hipError_tPvRmT1_T2_T3_mT4_P12ihipStream_tbEUlT_E1_NS1_11comp_targetILNS1_3genE10ELNS1_11target_archE1201ELNS1_3gpuE5ELNS1_3repE0EEENS1_30default_config_static_selectorELNS0_4arch9wavefront6targetE0EEEvSR_,@function
_ZN7rocprim17ROCPRIM_400000_NS6detail17trampoline_kernelINS0_14default_configENS1_22reduce_config_selectorI18summary_stats_dataIfEEEZNS1_11reduce_implILb1ES3_N6thrust23THRUST_200600_302600_NS11hip_rocprim26transform_input_iterator_tIS6_NSA_6detail15normal_iteratorINSA_10device_ptrIfEEEE22summary_stats_unary_opIfEEEPS6_S6_23summary_stats_binary_opIfEEE10hipError_tPvRmT1_T2_T3_mT4_P12ihipStream_tbEUlT_E1_NS1_11comp_targetILNS1_3genE10ELNS1_11target_archE1201ELNS1_3gpuE5ELNS1_3repE0EEENS1_30default_config_static_selectorELNS0_4arch9wavefront6targetE0EEEvSR_: ; @_ZN7rocprim17ROCPRIM_400000_NS6detail17trampoline_kernelINS0_14default_configENS1_22reduce_config_selectorI18summary_stats_dataIfEEEZNS1_11reduce_implILb1ES3_N6thrust23THRUST_200600_302600_NS11hip_rocprim26transform_input_iterator_tIS6_NSA_6detail15normal_iteratorINSA_10device_ptrIfEEEE22summary_stats_unary_opIfEEEPS6_S6_23summary_stats_binary_opIfEEE10hipError_tPvRmT1_T2_T3_mT4_P12ihipStream_tbEUlT_E1_NS1_11comp_targetILNS1_3genE10ELNS1_11target_archE1201ELNS1_3gpuE5ELNS1_3repE0EEENS1_30default_config_static_selectorELNS0_4arch9wavefront6targetE0EEEvSR_
; %bb.0:
	.section	.rodata,"a",@progbits
	.p2align	6, 0x0
	.amdhsa_kernel _ZN7rocprim17ROCPRIM_400000_NS6detail17trampoline_kernelINS0_14default_configENS1_22reduce_config_selectorI18summary_stats_dataIfEEEZNS1_11reduce_implILb1ES3_N6thrust23THRUST_200600_302600_NS11hip_rocprim26transform_input_iterator_tIS6_NSA_6detail15normal_iteratorINSA_10device_ptrIfEEEE22summary_stats_unary_opIfEEEPS6_S6_23summary_stats_binary_opIfEEE10hipError_tPvRmT1_T2_T3_mT4_P12ihipStream_tbEUlT_E1_NS1_11comp_targetILNS1_3genE10ELNS1_11target_archE1201ELNS1_3gpuE5ELNS1_3repE0EEENS1_30default_config_static_selectorELNS0_4arch9wavefront6targetE0EEEvSR_
		.amdhsa_group_segment_fixed_size 0
		.amdhsa_private_segment_fixed_size 0
		.amdhsa_kernarg_size 72
		.amdhsa_user_sgpr_count 6
		.amdhsa_user_sgpr_private_segment_buffer 1
		.amdhsa_user_sgpr_dispatch_ptr 0
		.amdhsa_user_sgpr_queue_ptr 0
		.amdhsa_user_sgpr_kernarg_segment_ptr 1
		.amdhsa_user_sgpr_dispatch_id 0
		.amdhsa_user_sgpr_flat_scratch_init 0
		.amdhsa_user_sgpr_private_segment_size 0
		.amdhsa_wavefront_size32 1
		.amdhsa_uses_dynamic_stack 0
		.amdhsa_system_sgpr_private_segment_wavefront_offset 0
		.amdhsa_system_sgpr_workgroup_id_x 1
		.amdhsa_system_sgpr_workgroup_id_y 0
		.amdhsa_system_sgpr_workgroup_id_z 0
		.amdhsa_system_sgpr_workgroup_info 0
		.amdhsa_system_vgpr_workitem_id 0
		.amdhsa_next_free_vgpr 1
		.amdhsa_next_free_sgpr 1
		.amdhsa_reserve_vcc 0
		.amdhsa_reserve_flat_scratch 0
		.amdhsa_float_round_mode_32 0
		.amdhsa_float_round_mode_16_64 0
		.amdhsa_float_denorm_mode_32 3
		.amdhsa_float_denorm_mode_16_64 3
		.amdhsa_dx10_clamp 1
		.amdhsa_ieee_mode 1
		.amdhsa_fp16_overflow 0
		.amdhsa_workgroup_processor_mode 1
		.amdhsa_memory_ordered 1
		.amdhsa_forward_progress 1
		.amdhsa_shared_vgpr_count 0
		.amdhsa_exception_fp_ieee_invalid_op 0
		.amdhsa_exception_fp_denorm_src 0
		.amdhsa_exception_fp_ieee_div_zero 0
		.amdhsa_exception_fp_ieee_overflow 0
		.amdhsa_exception_fp_ieee_underflow 0
		.amdhsa_exception_fp_ieee_inexact 0
		.amdhsa_exception_int_div_zero 0
	.end_amdhsa_kernel
	.section	.text._ZN7rocprim17ROCPRIM_400000_NS6detail17trampoline_kernelINS0_14default_configENS1_22reduce_config_selectorI18summary_stats_dataIfEEEZNS1_11reduce_implILb1ES3_N6thrust23THRUST_200600_302600_NS11hip_rocprim26transform_input_iterator_tIS6_NSA_6detail15normal_iteratorINSA_10device_ptrIfEEEE22summary_stats_unary_opIfEEEPS6_S6_23summary_stats_binary_opIfEEE10hipError_tPvRmT1_T2_T3_mT4_P12ihipStream_tbEUlT_E1_NS1_11comp_targetILNS1_3genE10ELNS1_11target_archE1201ELNS1_3gpuE5ELNS1_3repE0EEENS1_30default_config_static_selectorELNS0_4arch9wavefront6targetE0EEEvSR_,"axG",@progbits,_ZN7rocprim17ROCPRIM_400000_NS6detail17trampoline_kernelINS0_14default_configENS1_22reduce_config_selectorI18summary_stats_dataIfEEEZNS1_11reduce_implILb1ES3_N6thrust23THRUST_200600_302600_NS11hip_rocprim26transform_input_iterator_tIS6_NSA_6detail15normal_iteratorINSA_10device_ptrIfEEEE22summary_stats_unary_opIfEEEPS6_S6_23summary_stats_binary_opIfEEE10hipError_tPvRmT1_T2_T3_mT4_P12ihipStream_tbEUlT_E1_NS1_11comp_targetILNS1_3genE10ELNS1_11target_archE1201ELNS1_3gpuE5ELNS1_3repE0EEENS1_30default_config_static_selectorELNS0_4arch9wavefront6targetE0EEEvSR_,comdat
.Lfunc_end32:
	.size	_ZN7rocprim17ROCPRIM_400000_NS6detail17trampoline_kernelINS0_14default_configENS1_22reduce_config_selectorI18summary_stats_dataIfEEEZNS1_11reduce_implILb1ES3_N6thrust23THRUST_200600_302600_NS11hip_rocprim26transform_input_iterator_tIS6_NSA_6detail15normal_iteratorINSA_10device_ptrIfEEEE22summary_stats_unary_opIfEEEPS6_S6_23summary_stats_binary_opIfEEE10hipError_tPvRmT1_T2_T3_mT4_P12ihipStream_tbEUlT_E1_NS1_11comp_targetILNS1_3genE10ELNS1_11target_archE1201ELNS1_3gpuE5ELNS1_3repE0EEENS1_30default_config_static_selectorELNS0_4arch9wavefront6targetE0EEEvSR_, .Lfunc_end32-_ZN7rocprim17ROCPRIM_400000_NS6detail17trampoline_kernelINS0_14default_configENS1_22reduce_config_selectorI18summary_stats_dataIfEEEZNS1_11reduce_implILb1ES3_N6thrust23THRUST_200600_302600_NS11hip_rocprim26transform_input_iterator_tIS6_NSA_6detail15normal_iteratorINSA_10device_ptrIfEEEE22summary_stats_unary_opIfEEEPS6_S6_23summary_stats_binary_opIfEEE10hipError_tPvRmT1_T2_T3_mT4_P12ihipStream_tbEUlT_E1_NS1_11comp_targetILNS1_3genE10ELNS1_11target_archE1201ELNS1_3gpuE5ELNS1_3repE0EEENS1_30default_config_static_selectorELNS0_4arch9wavefront6targetE0EEEvSR_
                                        ; -- End function
	.set _ZN7rocprim17ROCPRIM_400000_NS6detail17trampoline_kernelINS0_14default_configENS1_22reduce_config_selectorI18summary_stats_dataIfEEEZNS1_11reduce_implILb1ES3_N6thrust23THRUST_200600_302600_NS11hip_rocprim26transform_input_iterator_tIS6_NSA_6detail15normal_iteratorINSA_10device_ptrIfEEEE22summary_stats_unary_opIfEEEPS6_S6_23summary_stats_binary_opIfEEE10hipError_tPvRmT1_T2_T3_mT4_P12ihipStream_tbEUlT_E1_NS1_11comp_targetILNS1_3genE10ELNS1_11target_archE1201ELNS1_3gpuE5ELNS1_3repE0EEENS1_30default_config_static_selectorELNS0_4arch9wavefront6targetE0EEEvSR_.num_vgpr, 0
	.set _ZN7rocprim17ROCPRIM_400000_NS6detail17trampoline_kernelINS0_14default_configENS1_22reduce_config_selectorI18summary_stats_dataIfEEEZNS1_11reduce_implILb1ES3_N6thrust23THRUST_200600_302600_NS11hip_rocprim26transform_input_iterator_tIS6_NSA_6detail15normal_iteratorINSA_10device_ptrIfEEEE22summary_stats_unary_opIfEEEPS6_S6_23summary_stats_binary_opIfEEE10hipError_tPvRmT1_T2_T3_mT4_P12ihipStream_tbEUlT_E1_NS1_11comp_targetILNS1_3genE10ELNS1_11target_archE1201ELNS1_3gpuE5ELNS1_3repE0EEENS1_30default_config_static_selectorELNS0_4arch9wavefront6targetE0EEEvSR_.num_agpr, 0
	.set _ZN7rocprim17ROCPRIM_400000_NS6detail17trampoline_kernelINS0_14default_configENS1_22reduce_config_selectorI18summary_stats_dataIfEEEZNS1_11reduce_implILb1ES3_N6thrust23THRUST_200600_302600_NS11hip_rocprim26transform_input_iterator_tIS6_NSA_6detail15normal_iteratorINSA_10device_ptrIfEEEE22summary_stats_unary_opIfEEEPS6_S6_23summary_stats_binary_opIfEEE10hipError_tPvRmT1_T2_T3_mT4_P12ihipStream_tbEUlT_E1_NS1_11comp_targetILNS1_3genE10ELNS1_11target_archE1201ELNS1_3gpuE5ELNS1_3repE0EEENS1_30default_config_static_selectorELNS0_4arch9wavefront6targetE0EEEvSR_.numbered_sgpr, 0
	.set _ZN7rocprim17ROCPRIM_400000_NS6detail17trampoline_kernelINS0_14default_configENS1_22reduce_config_selectorI18summary_stats_dataIfEEEZNS1_11reduce_implILb1ES3_N6thrust23THRUST_200600_302600_NS11hip_rocprim26transform_input_iterator_tIS6_NSA_6detail15normal_iteratorINSA_10device_ptrIfEEEE22summary_stats_unary_opIfEEEPS6_S6_23summary_stats_binary_opIfEEE10hipError_tPvRmT1_T2_T3_mT4_P12ihipStream_tbEUlT_E1_NS1_11comp_targetILNS1_3genE10ELNS1_11target_archE1201ELNS1_3gpuE5ELNS1_3repE0EEENS1_30default_config_static_selectorELNS0_4arch9wavefront6targetE0EEEvSR_.num_named_barrier, 0
	.set _ZN7rocprim17ROCPRIM_400000_NS6detail17trampoline_kernelINS0_14default_configENS1_22reduce_config_selectorI18summary_stats_dataIfEEEZNS1_11reduce_implILb1ES3_N6thrust23THRUST_200600_302600_NS11hip_rocprim26transform_input_iterator_tIS6_NSA_6detail15normal_iteratorINSA_10device_ptrIfEEEE22summary_stats_unary_opIfEEEPS6_S6_23summary_stats_binary_opIfEEE10hipError_tPvRmT1_T2_T3_mT4_P12ihipStream_tbEUlT_E1_NS1_11comp_targetILNS1_3genE10ELNS1_11target_archE1201ELNS1_3gpuE5ELNS1_3repE0EEENS1_30default_config_static_selectorELNS0_4arch9wavefront6targetE0EEEvSR_.private_seg_size, 0
	.set _ZN7rocprim17ROCPRIM_400000_NS6detail17trampoline_kernelINS0_14default_configENS1_22reduce_config_selectorI18summary_stats_dataIfEEEZNS1_11reduce_implILb1ES3_N6thrust23THRUST_200600_302600_NS11hip_rocprim26transform_input_iterator_tIS6_NSA_6detail15normal_iteratorINSA_10device_ptrIfEEEE22summary_stats_unary_opIfEEEPS6_S6_23summary_stats_binary_opIfEEE10hipError_tPvRmT1_T2_T3_mT4_P12ihipStream_tbEUlT_E1_NS1_11comp_targetILNS1_3genE10ELNS1_11target_archE1201ELNS1_3gpuE5ELNS1_3repE0EEENS1_30default_config_static_selectorELNS0_4arch9wavefront6targetE0EEEvSR_.uses_vcc, 0
	.set _ZN7rocprim17ROCPRIM_400000_NS6detail17trampoline_kernelINS0_14default_configENS1_22reduce_config_selectorI18summary_stats_dataIfEEEZNS1_11reduce_implILb1ES3_N6thrust23THRUST_200600_302600_NS11hip_rocprim26transform_input_iterator_tIS6_NSA_6detail15normal_iteratorINSA_10device_ptrIfEEEE22summary_stats_unary_opIfEEEPS6_S6_23summary_stats_binary_opIfEEE10hipError_tPvRmT1_T2_T3_mT4_P12ihipStream_tbEUlT_E1_NS1_11comp_targetILNS1_3genE10ELNS1_11target_archE1201ELNS1_3gpuE5ELNS1_3repE0EEENS1_30default_config_static_selectorELNS0_4arch9wavefront6targetE0EEEvSR_.uses_flat_scratch, 0
	.set _ZN7rocprim17ROCPRIM_400000_NS6detail17trampoline_kernelINS0_14default_configENS1_22reduce_config_selectorI18summary_stats_dataIfEEEZNS1_11reduce_implILb1ES3_N6thrust23THRUST_200600_302600_NS11hip_rocprim26transform_input_iterator_tIS6_NSA_6detail15normal_iteratorINSA_10device_ptrIfEEEE22summary_stats_unary_opIfEEEPS6_S6_23summary_stats_binary_opIfEEE10hipError_tPvRmT1_T2_T3_mT4_P12ihipStream_tbEUlT_E1_NS1_11comp_targetILNS1_3genE10ELNS1_11target_archE1201ELNS1_3gpuE5ELNS1_3repE0EEENS1_30default_config_static_selectorELNS0_4arch9wavefront6targetE0EEEvSR_.has_dyn_sized_stack, 0
	.set _ZN7rocprim17ROCPRIM_400000_NS6detail17trampoline_kernelINS0_14default_configENS1_22reduce_config_selectorI18summary_stats_dataIfEEEZNS1_11reduce_implILb1ES3_N6thrust23THRUST_200600_302600_NS11hip_rocprim26transform_input_iterator_tIS6_NSA_6detail15normal_iteratorINSA_10device_ptrIfEEEE22summary_stats_unary_opIfEEEPS6_S6_23summary_stats_binary_opIfEEE10hipError_tPvRmT1_T2_T3_mT4_P12ihipStream_tbEUlT_E1_NS1_11comp_targetILNS1_3genE10ELNS1_11target_archE1201ELNS1_3gpuE5ELNS1_3repE0EEENS1_30default_config_static_selectorELNS0_4arch9wavefront6targetE0EEEvSR_.has_recursion, 0
	.set _ZN7rocprim17ROCPRIM_400000_NS6detail17trampoline_kernelINS0_14default_configENS1_22reduce_config_selectorI18summary_stats_dataIfEEEZNS1_11reduce_implILb1ES3_N6thrust23THRUST_200600_302600_NS11hip_rocprim26transform_input_iterator_tIS6_NSA_6detail15normal_iteratorINSA_10device_ptrIfEEEE22summary_stats_unary_opIfEEEPS6_S6_23summary_stats_binary_opIfEEE10hipError_tPvRmT1_T2_T3_mT4_P12ihipStream_tbEUlT_E1_NS1_11comp_targetILNS1_3genE10ELNS1_11target_archE1201ELNS1_3gpuE5ELNS1_3repE0EEENS1_30default_config_static_selectorELNS0_4arch9wavefront6targetE0EEEvSR_.has_indirect_call, 0
	.section	.AMDGPU.csdata,"",@progbits
; Kernel info:
; codeLenInByte = 0
; TotalNumSgprs: 0
; NumVgprs: 0
; ScratchSize: 0
; MemoryBound: 0
; FloatMode: 240
; IeeeMode: 1
; LDSByteSize: 0 bytes/workgroup (compile time only)
; SGPRBlocks: 0
; VGPRBlocks: 0
; NumSGPRsForWavesPerEU: 1
; NumVGPRsForWavesPerEU: 1
; Occupancy: 16
; WaveLimiterHint : 0
; COMPUTE_PGM_RSRC2:SCRATCH_EN: 0
; COMPUTE_PGM_RSRC2:USER_SGPR: 6
; COMPUTE_PGM_RSRC2:TRAP_HANDLER: 0
; COMPUTE_PGM_RSRC2:TGID_X_EN: 1
; COMPUTE_PGM_RSRC2:TGID_Y_EN: 0
; COMPUTE_PGM_RSRC2:TGID_Z_EN: 0
; COMPUTE_PGM_RSRC2:TIDIG_COMP_CNT: 0
	.section	.text._ZN7rocprim17ROCPRIM_400000_NS6detail17trampoline_kernelINS0_14default_configENS1_22reduce_config_selectorI18summary_stats_dataIfEEEZNS1_11reduce_implILb1ES3_N6thrust23THRUST_200600_302600_NS11hip_rocprim26transform_input_iterator_tIS6_NSA_6detail15normal_iteratorINSA_10device_ptrIfEEEE22summary_stats_unary_opIfEEEPS6_S6_23summary_stats_binary_opIfEEE10hipError_tPvRmT1_T2_T3_mT4_P12ihipStream_tbEUlT_E1_NS1_11comp_targetILNS1_3genE10ELNS1_11target_archE1200ELNS1_3gpuE4ELNS1_3repE0EEENS1_30default_config_static_selectorELNS0_4arch9wavefront6targetE0EEEvSR_,"axG",@progbits,_ZN7rocprim17ROCPRIM_400000_NS6detail17trampoline_kernelINS0_14default_configENS1_22reduce_config_selectorI18summary_stats_dataIfEEEZNS1_11reduce_implILb1ES3_N6thrust23THRUST_200600_302600_NS11hip_rocprim26transform_input_iterator_tIS6_NSA_6detail15normal_iteratorINSA_10device_ptrIfEEEE22summary_stats_unary_opIfEEEPS6_S6_23summary_stats_binary_opIfEEE10hipError_tPvRmT1_T2_T3_mT4_P12ihipStream_tbEUlT_E1_NS1_11comp_targetILNS1_3genE10ELNS1_11target_archE1200ELNS1_3gpuE4ELNS1_3repE0EEENS1_30default_config_static_selectorELNS0_4arch9wavefront6targetE0EEEvSR_,comdat
	.protected	_ZN7rocprim17ROCPRIM_400000_NS6detail17trampoline_kernelINS0_14default_configENS1_22reduce_config_selectorI18summary_stats_dataIfEEEZNS1_11reduce_implILb1ES3_N6thrust23THRUST_200600_302600_NS11hip_rocprim26transform_input_iterator_tIS6_NSA_6detail15normal_iteratorINSA_10device_ptrIfEEEE22summary_stats_unary_opIfEEEPS6_S6_23summary_stats_binary_opIfEEE10hipError_tPvRmT1_T2_T3_mT4_P12ihipStream_tbEUlT_E1_NS1_11comp_targetILNS1_3genE10ELNS1_11target_archE1200ELNS1_3gpuE4ELNS1_3repE0EEENS1_30default_config_static_selectorELNS0_4arch9wavefront6targetE0EEEvSR_ ; -- Begin function _ZN7rocprim17ROCPRIM_400000_NS6detail17trampoline_kernelINS0_14default_configENS1_22reduce_config_selectorI18summary_stats_dataIfEEEZNS1_11reduce_implILb1ES3_N6thrust23THRUST_200600_302600_NS11hip_rocprim26transform_input_iterator_tIS6_NSA_6detail15normal_iteratorINSA_10device_ptrIfEEEE22summary_stats_unary_opIfEEEPS6_S6_23summary_stats_binary_opIfEEE10hipError_tPvRmT1_T2_T3_mT4_P12ihipStream_tbEUlT_E1_NS1_11comp_targetILNS1_3genE10ELNS1_11target_archE1200ELNS1_3gpuE4ELNS1_3repE0EEENS1_30default_config_static_selectorELNS0_4arch9wavefront6targetE0EEEvSR_
	.globl	_ZN7rocprim17ROCPRIM_400000_NS6detail17trampoline_kernelINS0_14default_configENS1_22reduce_config_selectorI18summary_stats_dataIfEEEZNS1_11reduce_implILb1ES3_N6thrust23THRUST_200600_302600_NS11hip_rocprim26transform_input_iterator_tIS6_NSA_6detail15normal_iteratorINSA_10device_ptrIfEEEE22summary_stats_unary_opIfEEEPS6_S6_23summary_stats_binary_opIfEEE10hipError_tPvRmT1_T2_T3_mT4_P12ihipStream_tbEUlT_E1_NS1_11comp_targetILNS1_3genE10ELNS1_11target_archE1200ELNS1_3gpuE4ELNS1_3repE0EEENS1_30default_config_static_selectorELNS0_4arch9wavefront6targetE0EEEvSR_
	.p2align	8
	.type	_ZN7rocprim17ROCPRIM_400000_NS6detail17trampoline_kernelINS0_14default_configENS1_22reduce_config_selectorI18summary_stats_dataIfEEEZNS1_11reduce_implILb1ES3_N6thrust23THRUST_200600_302600_NS11hip_rocprim26transform_input_iterator_tIS6_NSA_6detail15normal_iteratorINSA_10device_ptrIfEEEE22summary_stats_unary_opIfEEEPS6_S6_23summary_stats_binary_opIfEEE10hipError_tPvRmT1_T2_T3_mT4_P12ihipStream_tbEUlT_E1_NS1_11comp_targetILNS1_3genE10ELNS1_11target_archE1200ELNS1_3gpuE4ELNS1_3repE0EEENS1_30default_config_static_selectorELNS0_4arch9wavefront6targetE0EEEvSR_,@function
_ZN7rocprim17ROCPRIM_400000_NS6detail17trampoline_kernelINS0_14default_configENS1_22reduce_config_selectorI18summary_stats_dataIfEEEZNS1_11reduce_implILb1ES3_N6thrust23THRUST_200600_302600_NS11hip_rocprim26transform_input_iterator_tIS6_NSA_6detail15normal_iteratorINSA_10device_ptrIfEEEE22summary_stats_unary_opIfEEEPS6_S6_23summary_stats_binary_opIfEEE10hipError_tPvRmT1_T2_T3_mT4_P12ihipStream_tbEUlT_E1_NS1_11comp_targetILNS1_3genE10ELNS1_11target_archE1200ELNS1_3gpuE4ELNS1_3repE0EEENS1_30default_config_static_selectorELNS0_4arch9wavefront6targetE0EEEvSR_: ; @_ZN7rocprim17ROCPRIM_400000_NS6detail17trampoline_kernelINS0_14default_configENS1_22reduce_config_selectorI18summary_stats_dataIfEEEZNS1_11reduce_implILb1ES3_N6thrust23THRUST_200600_302600_NS11hip_rocprim26transform_input_iterator_tIS6_NSA_6detail15normal_iteratorINSA_10device_ptrIfEEEE22summary_stats_unary_opIfEEEPS6_S6_23summary_stats_binary_opIfEEE10hipError_tPvRmT1_T2_T3_mT4_P12ihipStream_tbEUlT_E1_NS1_11comp_targetILNS1_3genE10ELNS1_11target_archE1200ELNS1_3gpuE4ELNS1_3repE0EEENS1_30default_config_static_selectorELNS0_4arch9wavefront6targetE0EEEvSR_
; %bb.0:
	.section	.rodata,"a",@progbits
	.p2align	6, 0x0
	.amdhsa_kernel _ZN7rocprim17ROCPRIM_400000_NS6detail17trampoline_kernelINS0_14default_configENS1_22reduce_config_selectorI18summary_stats_dataIfEEEZNS1_11reduce_implILb1ES3_N6thrust23THRUST_200600_302600_NS11hip_rocprim26transform_input_iterator_tIS6_NSA_6detail15normal_iteratorINSA_10device_ptrIfEEEE22summary_stats_unary_opIfEEEPS6_S6_23summary_stats_binary_opIfEEE10hipError_tPvRmT1_T2_T3_mT4_P12ihipStream_tbEUlT_E1_NS1_11comp_targetILNS1_3genE10ELNS1_11target_archE1200ELNS1_3gpuE4ELNS1_3repE0EEENS1_30default_config_static_selectorELNS0_4arch9wavefront6targetE0EEEvSR_
		.amdhsa_group_segment_fixed_size 0
		.amdhsa_private_segment_fixed_size 0
		.amdhsa_kernarg_size 72
		.amdhsa_user_sgpr_count 6
		.amdhsa_user_sgpr_private_segment_buffer 1
		.amdhsa_user_sgpr_dispatch_ptr 0
		.amdhsa_user_sgpr_queue_ptr 0
		.amdhsa_user_sgpr_kernarg_segment_ptr 1
		.amdhsa_user_sgpr_dispatch_id 0
		.amdhsa_user_sgpr_flat_scratch_init 0
		.amdhsa_user_sgpr_private_segment_size 0
		.amdhsa_wavefront_size32 1
		.amdhsa_uses_dynamic_stack 0
		.amdhsa_system_sgpr_private_segment_wavefront_offset 0
		.amdhsa_system_sgpr_workgroup_id_x 1
		.amdhsa_system_sgpr_workgroup_id_y 0
		.amdhsa_system_sgpr_workgroup_id_z 0
		.amdhsa_system_sgpr_workgroup_info 0
		.amdhsa_system_vgpr_workitem_id 0
		.amdhsa_next_free_vgpr 1
		.amdhsa_next_free_sgpr 1
		.amdhsa_reserve_vcc 0
		.amdhsa_reserve_flat_scratch 0
		.amdhsa_float_round_mode_32 0
		.amdhsa_float_round_mode_16_64 0
		.amdhsa_float_denorm_mode_32 3
		.amdhsa_float_denorm_mode_16_64 3
		.amdhsa_dx10_clamp 1
		.amdhsa_ieee_mode 1
		.amdhsa_fp16_overflow 0
		.amdhsa_workgroup_processor_mode 1
		.amdhsa_memory_ordered 1
		.amdhsa_forward_progress 1
		.amdhsa_shared_vgpr_count 0
		.amdhsa_exception_fp_ieee_invalid_op 0
		.amdhsa_exception_fp_denorm_src 0
		.amdhsa_exception_fp_ieee_div_zero 0
		.amdhsa_exception_fp_ieee_overflow 0
		.amdhsa_exception_fp_ieee_underflow 0
		.amdhsa_exception_fp_ieee_inexact 0
		.amdhsa_exception_int_div_zero 0
	.end_amdhsa_kernel
	.section	.text._ZN7rocprim17ROCPRIM_400000_NS6detail17trampoline_kernelINS0_14default_configENS1_22reduce_config_selectorI18summary_stats_dataIfEEEZNS1_11reduce_implILb1ES3_N6thrust23THRUST_200600_302600_NS11hip_rocprim26transform_input_iterator_tIS6_NSA_6detail15normal_iteratorINSA_10device_ptrIfEEEE22summary_stats_unary_opIfEEEPS6_S6_23summary_stats_binary_opIfEEE10hipError_tPvRmT1_T2_T3_mT4_P12ihipStream_tbEUlT_E1_NS1_11comp_targetILNS1_3genE10ELNS1_11target_archE1200ELNS1_3gpuE4ELNS1_3repE0EEENS1_30default_config_static_selectorELNS0_4arch9wavefront6targetE0EEEvSR_,"axG",@progbits,_ZN7rocprim17ROCPRIM_400000_NS6detail17trampoline_kernelINS0_14default_configENS1_22reduce_config_selectorI18summary_stats_dataIfEEEZNS1_11reduce_implILb1ES3_N6thrust23THRUST_200600_302600_NS11hip_rocprim26transform_input_iterator_tIS6_NSA_6detail15normal_iteratorINSA_10device_ptrIfEEEE22summary_stats_unary_opIfEEEPS6_S6_23summary_stats_binary_opIfEEE10hipError_tPvRmT1_T2_T3_mT4_P12ihipStream_tbEUlT_E1_NS1_11comp_targetILNS1_3genE10ELNS1_11target_archE1200ELNS1_3gpuE4ELNS1_3repE0EEENS1_30default_config_static_selectorELNS0_4arch9wavefront6targetE0EEEvSR_,comdat
.Lfunc_end33:
	.size	_ZN7rocprim17ROCPRIM_400000_NS6detail17trampoline_kernelINS0_14default_configENS1_22reduce_config_selectorI18summary_stats_dataIfEEEZNS1_11reduce_implILb1ES3_N6thrust23THRUST_200600_302600_NS11hip_rocprim26transform_input_iterator_tIS6_NSA_6detail15normal_iteratorINSA_10device_ptrIfEEEE22summary_stats_unary_opIfEEEPS6_S6_23summary_stats_binary_opIfEEE10hipError_tPvRmT1_T2_T3_mT4_P12ihipStream_tbEUlT_E1_NS1_11comp_targetILNS1_3genE10ELNS1_11target_archE1200ELNS1_3gpuE4ELNS1_3repE0EEENS1_30default_config_static_selectorELNS0_4arch9wavefront6targetE0EEEvSR_, .Lfunc_end33-_ZN7rocprim17ROCPRIM_400000_NS6detail17trampoline_kernelINS0_14default_configENS1_22reduce_config_selectorI18summary_stats_dataIfEEEZNS1_11reduce_implILb1ES3_N6thrust23THRUST_200600_302600_NS11hip_rocprim26transform_input_iterator_tIS6_NSA_6detail15normal_iteratorINSA_10device_ptrIfEEEE22summary_stats_unary_opIfEEEPS6_S6_23summary_stats_binary_opIfEEE10hipError_tPvRmT1_T2_T3_mT4_P12ihipStream_tbEUlT_E1_NS1_11comp_targetILNS1_3genE10ELNS1_11target_archE1200ELNS1_3gpuE4ELNS1_3repE0EEENS1_30default_config_static_selectorELNS0_4arch9wavefront6targetE0EEEvSR_
                                        ; -- End function
	.set _ZN7rocprim17ROCPRIM_400000_NS6detail17trampoline_kernelINS0_14default_configENS1_22reduce_config_selectorI18summary_stats_dataIfEEEZNS1_11reduce_implILb1ES3_N6thrust23THRUST_200600_302600_NS11hip_rocprim26transform_input_iterator_tIS6_NSA_6detail15normal_iteratorINSA_10device_ptrIfEEEE22summary_stats_unary_opIfEEEPS6_S6_23summary_stats_binary_opIfEEE10hipError_tPvRmT1_T2_T3_mT4_P12ihipStream_tbEUlT_E1_NS1_11comp_targetILNS1_3genE10ELNS1_11target_archE1200ELNS1_3gpuE4ELNS1_3repE0EEENS1_30default_config_static_selectorELNS0_4arch9wavefront6targetE0EEEvSR_.num_vgpr, 0
	.set _ZN7rocprim17ROCPRIM_400000_NS6detail17trampoline_kernelINS0_14default_configENS1_22reduce_config_selectorI18summary_stats_dataIfEEEZNS1_11reduce_implILb1ES3_N6thrust23THRUST_200600_302600_NS11hip_rocprim26transform_input_iterator_tIS6_NSA_6detail15normal_iteratorINSA_10device_ptrIfEEEE22summary_stats_unary_opIfEEEPS6_S6_23summary_stats_binary_opIfEEE10hipError_tPvRmT1_T2_T3_mT4_P12ihipStream_tbEUlT_E1_NS1_11comp_targetILNS1_3genE10ELNS1_11target_archE1200ELNS1_3gpuE4ELNS1_3repE0EEENS1_30default_config_static_selectorELNS0_4arch9wavefront6targetE0EEEvSR_.num_agpr, 0
	.set _ZN7rocprim17ROCPRIM_400000_NS6detail17trampoline_kernelINS0_14default_configENS1_22reduce_config_selectorI18summary_stats_dataIfEEEZNS1_11reduce_implILb1ES3_N6thrust23THRUST_200600_302600_NS11hip_rocprim26transform_input_iterator_tIS6_NSA_6detail15normal_iteratorINSA_10device_ptrIfEEEE22summary_stats_unary_opIfEEEPS6_S6_23summary_stats_binary_opIfEEE10hipError_tPvRmT1_T2_T3_mT4_P12ihipStream_tbEUlT_E1_NS1_11comp_targetILNS1_3genE10ELNS1_11target_archE1200ELNS1_3gpuE4ELNS1_3repE0EEENS1_30default_config_static_selectorELNS0_4arch9wavefront6targetE0EEEvSR_.numbered_sgpr, 0
	.set _ZN7rocprim17ROCPRIM_400000_NS6detail17trampoline_kernelINS0_14default_configENS1_22reduce_config_selectorI18summary_stats_dataIfEEEZNS1_11reduce_implILb1ES3_N6thrust23THRUST_200600_302600_NS11hip_rocprim26transform_input_iterator_tIS6_NSA_6detail15normal_iteratorINSA_10device_ptrIfEEEE22summary_stats_unary_opIfEEEPS6_S6_23summary_stats_binary_opIfEEE10hipError_tPvRmT1_T2_T3_mT4_P12ihipStream_tbEUlT_E1_NS1_11comp_targetILNS1_3genE10ELNS1_11target_archE1200ELNS1_3gpuE4ELNS1_3repE0EEENS1_30default_config_static_selectorELNS0_4arch9wavefront6targetE0EEEvSR_.num_named_barrier, 0
	.set _ZN7rocprim17ROCPRIM_400000_NS6detail17trampoline_kernelINS0_14default_configENS1_22reduce_config_selectorI18summary_stats_dataIfEEEZNS1_11reduce_implILb1ES3_N6thrust23THRUST_200600_302600_NS11hip_rocprim26transform_input_iterator_tIS6_NSA_6detail15normal_iteratorINSA_10device_ptrIfEEEE22summary_stats_unary_opIfEEEPS6_S6_23summary_stats_binary_opIfEEE10hipError_tPvRmT1_T2_T3_mT4_P12ihipStream_tbEUlT_E1_NS1_11comp_targetILNS1_3genE10ELNS1_11target_archE1200ELNS1_3gpuE4ELNS1_3repE0EEENS1_30default_config_static_selectorELNS0_4arch9wavefront6targetE0EEEvSR_.private_seg_size, 0
	.set _ZN7rocprim17ROCPRIM_400000_NS6detail17trampoline_kernelINS0_14default_configENS1_22reduce_config_selectorI18summary_stats_dataIfEEEZNS1_11reduce_implILb1ES3_N6thrust23THRUST_200600_302600_NS11hip_rocprim26transform_input_iterator_tIS6_NSA_6detail15normal_iteratorINSA_10device_ptrIfEEEE22summary_stats_unary_opIfEEEPS6_S6_23summary_stats_binary_opIfEEE10hipError_tPvRmT1_T2_T3_mT4_P12ihipStream_tbEUlT_E1_NS1_11comp_targetILNS1_3genE10ELNS1_11target_archE1200ELNS1_3gpuE4ELNS1_3repE0EEENS1_30default_config_static_selectorELNS0_4arch9wavefront6targetE0EEEvSR_.uses_vcc, 0
	.set _ZN7rocprim17ROCPRIM_400000_NS6detail17trampoline_kernelINS0_14default_configENS1_22reduce_config_selectorI18summary_stats_dataIfEEEZNS1_11reduce_implILb1ES3_N6thrust23THRUST_200600_302600_NS11hip_rocprim26transform_input_iterator_tIS6_NSA_6detail15normal_iteratorINSA_10device_ptrIfEEEE22summary_stats_unary_opIfEEEPS6_S6_23summary_stats_binary_opIfEEE10hipError_tPvRmT1_T2_T3_mT4_P12ihipStream_tbEUlT_E1_NS1_11comp_targetILNS1_3genE10ELNS1_11target_archE1200ELNS1_3gpuE4ELNS1_3repE0EEENS1_30default_config_static_selectorELNS0_4arch9wavefront6targetE0EEEvSR_.uses_flat_scratch, 0
	.set _ZN7rocprim17ROCPRIM_400000_NS6detail17trampoline_kernelINS0_14default_configENS1_22reduce_config_selectorI18summary_stats_dataIfEEEZNS1_11reduce_implILb1ES3_N6thrust23THRUST_200600_302600_NS11hip_rocprim26transform_input_iterator_tIS6_NSA_6detail15normal_iteratorINSA_10device_ptrIfEEEE22summary_stats_unary_opIfEEEPS6_S6_23summary_stats_binary_opIfEEE10hipError_tPvRmT1_T2_T3_mT4_P12ihipStream_tbEUlT_E1_NS1_11comp_targetILNS1_3genE10ELNS1_11target_archE1200ELNS1_3gpuE4ELNS1_3repE0EEENS1_30default_config_static_selectorELNS0_4arch9wavefront6targetE0EEEvSR_.has_dyn_sized_stack, 0
	.set _ZN7rocprim17ROCPRIM_400000_NS6detail17trampoline_kernelINS0_14default_configENS1_22reduce_config_selectorI18summary_stats_dataIfEEEZNS1_11reduce_implILb1ES3_N6thrust23THRUST_200600_302600_NS11hip_rocprim26transform_input_iterator_tIS6_NSA_6detail15normal_iteratorINSA_10device_ptrIfEEEE22summary_stats_unary_opIfEEEPS6_S6_23summary_stats_binary_opIfEEE10hipError_tPvRmT1_T2_T3_mT4_P12ihipStream_tbEUlT_E1_NS1_11comp_targetILNS1_3genE10ELNS1_11target_archE1200ELNS1_3gpuE4ELNS1_3repE0EEENS1_30default_config_static_selectorELNS0_4arch9wavefront6targetE0EEEvSR_.has_recursion, 0
	.set _ZN7rocprim17ROCPRIM_400000_NS6detail17trampoline_kernelINS0_14default_configENS1_22reduce_config_selectorI18summary_stats_dataIfEEEZNS1_11reduce_implILb1ES3_N6thrust23THRUST_200600_302600_NS11hip_rocprim26transform_input_iterator_tIS6_NSA_6detail15normal_iteratorINSA_10device_ptrIfEEEE22summary_stats_unary_opIfEEEPS6_S6_23summary_stats_binary_opIfEEE10hipError_tPvRmT1_T2_T3_mT4_P12ihipStream_tbEUlT_E1_NS1_11comp_targetILNS1_3genE10ELNS1_11target_archE1200ELNS1_3gpuE4ELNS1_3repE0EEENS1_30default_config_static_selectorELNS0_4arch9wavefront6targetE0EEEvSR_.has_indirect_call, 0
	.section	.AMDGPU.csdata,"",@progbits
; Kernel info:
; codeLenInByte = 0
; TotalNumSgprs: 0
; NumVgprs: 0
; ScratchSize: 0
; MemoryBound: 0
; FloatMode: 240
; IeeeMode: 1
; LDSByteSize: 0 bytes/workgroup (compile time only)
; SGPRBlocks: 0
; VGPRBlocks: 0
; NumSGPRsForWavesPerEU: 1
; NumVGPRsForWavesPerEU: 1
; Occupancy: 16
; WaveLimiterHint : 0
; COMPUTE_PGM_RSRC2:SCRATCH_EN: 0
; COMPUTE_PGM_RSRC2:USER_SGPR: 6
; COMPUTE_PGM_RSRC2:TRAP_HANDLER: 0
; COMPUTE_PGM_RSRC2:TGID_X_EN: 1
; COMPUTE_PGM_RSRC2:TGID_Y_EN: 0
; COMPUTE_PGM_RSRC2:TGID_Z_EN: 0
; COMPUTE_PGM_RSRC2:TIDIG_COMP_CNT: 0
	.section	.text._ZN7rocprim17ROCPRIM_400000_NS6detail17trampoline_kernelINS0_14default_configENS1_22reduce_config_selectorI18summary_stats_dataIfEEEZNS1_11reduce_implILb1ES3_N6thrust23THRUST_200600_302600_NS11hip_rocprim26transform_input_iterator_tIS6_NSA_6detail15normal_iteratorINSA_10device_ptrIfEEEE22summary_stats_unary_opIfEEEPS6_S6_23summary_stats_binary_opIfEEE10hipError_tPvRmT1_T2_T3_mT4_P12ihipStream_tbEUlT_E1_NS1_11comp_targetILNS1_3genE9ELNS1_11target_archE1100ELNS1_3gpuE3ELNS1_3repE0EEENS1_30default_config_static_selectorELNS0_4arch9wavefront6targetE0EEEvSR_,"axG",@progbits,_ZN7rocprim17ROCPRIM_400000_NS6detail17trampoline_kernelINS0_14default_configENS1_22reduce_config_selectorI18summary_stats_dataIfEEEZNS1_11reduce_implILb1ES3_N6thrust23THRUST_200600_302600_NS11hip_rocprim26transform_input_iterator_tIS6_NSA_6detail15normal_iteratorINSA_10device_ptrIfEEEE22summary_stats_unary_opIfEEEPS6_S6_23summary_stats_binary_opIfEEE10hipError_tPvRmT1_T2_T3_mT4_P12ihipStream_tbEUlT_E1_NS1_11comp_targetILNS1_3genE9ELNS1_11target_archE1100ELNS1_3gpuE3ELNS1_3repE0EEENS1_30default_config_static_selectorELNS0_4arch9wavefront6targetE0EEEvSR_,comdat
	.protected	_ZN7rocprim17ROCPRIM_400000_NS6detail17trampoline_kernelINS0_14default_configENS1_22reduce_config_selectorI18summary_stats_dataIfEEEZNS1_11reduce_implILb1ES3_N6thrust23THRUST_200600_302600_NS11hip_rocprim26transform_input_iterator_tIS6_NSA_6detail15normal_iteratorINSA_10device_ptrIfEEEE22summary_stats_unary_opIfEEEPS6_S6_23summary_stats_binary_opIfEEE10hipError_tPvRmT1_T2_T3_mT4_P12ihipStream_tbEUlT_E1_NS1_11comp_targetILNS1_3genE9ELNS1_11target_archE1100ELNS1_3gpuE3ELNS1_3repE0EEENS1_30default_config_static_selectorELNS0_4arch9wavefront6targetE0EEEvSR_ ; -- Begin function _ZN7rocprim17ROCPRIM_400000_NS6detail17trampoline_kernelINS0_14default_configENS1_22reduce_config_selectorI18summary_stats_dataIfEEEZNS1_11reduce_implILb1ES3_N6thrust23THRUST_200600_302600_NS11hip_rocprim26transform_input_iterator_tIS6_NSA_6detail15normal_iteratorINSA_10device_ptrIfEEEE22summary_stats_unary_opIfEEEPS6_S6_23summary_stats_binary_opIfEEE10hipError_tPvRmT1_T2_T3_mT4_P12ihipStream_tbEUlT_E1_NS1_11comp_targetILNS1_3genE9ELNS1_11target_archE1100ELNS1_3gpuE3ELNS1_3repE0EEENS1_30default_config_static_selectorELNS0_4arch9wavefront6targetE0EEEvSR_
	.globl	_ZN7rocprim17ROCPRIM_400000_NS6detail17trampoline_kernelINS0_14default_configENS1_22reduce_config_selectorI18summary_stats_dataIfEEEZNS1_11reduce_implILb1ES3_N6thrust23THRUST_200600_302600_NS11hip_rocprim26transform_input_iterator_tIS6_NSA_6detail15normal_iteratorINSA_10device_ptrIfEEEE22summary_stats_unary_opIfEEEPS6_S6_23summary_stats_binary_opIfEEE10hipError_tPvRmT1_T2_T3_mT4_P12ihipStream_tbEUlT_E1_NS1_11comp_targetILNS1_3genE9ELNS1_11target_archE1100ELNS1_3gpuE3ELNS1_3repE0EEENS1_30default_config_static_selectorELNS0_4arch9wavefront6targetE0EEEvSR_
	.p2align	8
	.type	_ZN7rocprim17ROCPRIM_400000_NS6detail17trampoline_kernelINS0_14default_configENS1_22reduce_config_selectorI18summary_stats_dataIfEEEZNS1_11reduce_implILb1ES3_N6thrust23THRUST_200600_302600_NS11hip_rocprim26transform_input_iterator_tIS6_NSA_6detail15normal_iteratorINSA_10device_ptrIfEEEE22summary_stats_unary_opIfEEEPS6_S6_23summary_stats_binary_opIfEEE10hipError_tPvRmT1_T2_T3_mT4_P12ihipStream_tbEUlT_E1_NS1_11comp_targetILNS1_3genE9ELNS1_11target_archE1100ELNS1_3gpuE3ELNS1_3repE0EEENS1_30default_config_static_selectorELNS0_4arch9wavefront6targetE0EEEvSR_,@function
_ZN7rocprim17ROCPRIM_400000_NS6detail17trampoline_kernelINS0_14default_configENS1_22reduce_config_selectorI18summary_stats_dataIfEEEZNS1_11reduce_implILb1ES3_N6thrust23THRUST_200600_302600_NS11hip_rocprim26transform_input_iterator_tIS6_NSA_6detail15normal_iteratorINSA_10device_ptrIfEEEE22summary_stats_unary_opIfEEEPS6_S6_23summary_stats_binary_opIfEEE10hipError_tPvRmT1_T2_T3_mT4_P12ihipStream_tbEUlT_E1_NS1_11comp_targetILNS1_3genE9ELNS1_11target_archE1100ELNS1_3gpuE3ELNS1_3repE0EEENS1_30default_config_static_selectorELNS0_4arch9wavefront6targetE0EEEvSR_: ; @_ZN7rocprim17ROCPRIM_400000_NS6detail17trampoline_kernelINS0_14default_configENS1_22reduce_config_selectorI18summary_stats_dataIfEEEZNS1_11reduce_implILb1ES3_N6thrust23THRUST_200600_302600_NS11hip_rocprim26transform_input_iterator_tIS6_NSA_6detail15normal_iteratorINSA_10device_ptrIfEEEE22summary_stats_unary_opIfEEEPS6_S6_23summary_stats_binary_opIfEEE10hipError_tPvRmT1_T2_T3_mT4_P12ihipStream_tbEUlT_E1_NS1_11comp_targetILNS1_3genE9ELNS1_11target_archE1100ELNS1_3gpuE3ELNS1_3repE0EEENS1_30default_config_static_selectorELNS0_4arch9wavefront6targetE0EEEvSR_
; %bb.0:
	.section	.rodata,"a",@progbits
	.p2align	6, 0x0
	.amdhsa_kernel _ZN7rocprim17ROCPRIM_400000_NS6detail17trampoline_kernelINS0_14default_configENS1_22reduce_config_selectorI18summary_stats_dataIfEEEZNS1_11reduce_implILb1ES3_N6thrust23THRUST_200600_302600_NS11hip_rocprim26transform_input_iterator_tIS6_NSA_6detail15normal_iteratorINSA_10device_ptrIfEEEE22summary_stats_unary_opIfEEEPS6_S6_23summary_stats_binary_opIfEEE10hipError_tPvRmT1_T2_T3_mT4_P12ihipStream_tbEUlT_E1_NS1_11comp_targetILNS1_3genE9ELNS1_11target_archE1100ELNS1_3gpuE3ELNS1_3repE0EEENS1_30default_config_static_selectorELNS0_4arch9wavefront6targetE0EEEvSR_
		.amdhsa_group_segment_fixed_size 0
		.amdhsa_private_segment_fixed_size 0
		.amdhsa_kernarg_size 72
		.amdhsa_user_sgpr_count 6
		.amdhsa_user_sgpr_private_segment_buffer 1
		.amdhsa_user_sgpr_dispatch_ptr 0
		.amdhsa_user_sgpr_queue_ptr 0
		.amdhsa_user_sgpr_kernarg_segment_ptr 1
		.amdhsa_user_sgpr_dispatch_id 0
		.amdhsa_user_sgpr_flat_scratch_init 0
		.amdhsa_user_sgpr_private_segment_size 0
		.amdhsa_wavefront_size32 1
		.amdhsa_uses_dynamic_stack 0
		.amdhsa_system_sgpr_private_segment_wavefront_offset 0
		.amdhsa_system_sgpr_workgroup_id_x 1
		.amdhsa_system_sgpr_workgroup_id_y 0
		.amdhsa_system_sgpr_workgroup_id_z 0
		.amdhsa_system_sgpr_workgroup_info 0
		.amdhsa_system_vgpr_workitem_id 0
		.amdhsa_next_free_vgpr 1
		.amdhsa_next_free_sgpr 1
		.amdhsa_reserve_vcc 0
		.amdhsa_reserve_flat_scratch 0
		.amdhsa_float_round_mode_32 0
		.amdhsa_float_round_mode_16_64 0
		.amdhsa_float_denorm_mode_32 3
		.amdhsa_float_denorm_mode_16_64 3
		.amdhsa_dx10_clamp 1
		.amdhsa_ieee_mode 1
		.amdhsa_fp16_overflow 0
		.amdhsa_workgroup_processor_mode 1
		.amdhsa_memory_ordered 1
		.amdhsa_forward_progress 1
		.amdhsa_shared_vgpr_count 0
		.amdhsa_exception_fp_ieee_invalid_op 0
		.amdhsa_exception_fp_denorm_src 0
		.amdhsa_exception_fp_ieee_div_zero 0
		.amdhsa_exception_fp_ieee_overflow 0
		.amdhsa_exception_fp_ieee_underflow 0
		.amdhsa_exception_fp_ieee_inexact 0
		.amdhsa_exception_int_div_zero 0
	.end_amdhsa_kernel
	.section	.text._ZN7rocprim17ROCPRIM_400000_NS6detail17trampoline_kernelINS0_14default_configENS1_22reduce_config_selectorI18summary_stats_dataIfEEEZNS1_11reduce_implILb1ES3_N6thrust23THRUST_200600_302600_NS11hip_rocprim26transform_input_iterator_tIS6_NSA_6detail15normal_iteratorINSA_10device_ptrIfEEEE22summary_stats_unary_opIfEEEPS6_S6_23summary_stats_binary_opIfEEE10hipError_tPvRmT1_T2_T3_mT4_P12ihipStream_tbEUlT_E1_NS1_11comp_targetILNS1_3genE9ELNS1_11target_archE1100ELNS1_3gpuE3ELNS1_3repE0EEENS1_30default_config_static_selectorELNS0_4arch9wavefront6targetE0EEEvSR_,"axG",@progbits,_ZN7rocprim17ROCPRIM_400000_NS6detail17trampoline_kernelINS0_14default_configENS1_22reduce_config_selectorI18summary_stats_dataIfEEEZNS1_11reduce_implILb1ES3_N6thrust23THRUST_200600_302600_NS11hip_rocprim26transform_input_iterator_tIS6_NSA_6detail15normal_iteratorINSA_10device_ptrIfEEEE22summary_stats_unary_opIfEEEPS6_S6_23summary_stats_binary_opIfEEE10hipError_tPvRmT1_T2_T3_mT4_P12ihipStream_tbEUlT_E1_NS1_11comp_targetILNS1_3genE9ELNS1_11target_archE1100ELNS1_3gpuE3ELNS1_3repE0EEENS1_30default_config_static_selectorELNS0_4arch9wavefront6targetE0EEEvSR_,comdat
.Lfunc_end34:
	.size	_ZN7rocprim17ROCPRIM_400000_NS6detail17trampoline_kernelINS0_14default_configENS1_22reduce_config_selectorI18summary_stats_dataIfEEEZNS1_11reduce_implILb1ES3_N6thrust23THRUST_200600_302600_NS11hip_rocprim26transform_input_iterator_tIS6_NSA_6detail15normal_iteratorINSA_10device_ptrIfEEEE22summary_stats_unary_opIfEEEPS6_S6_23summary_stats_binary_opIfEEE10hipError_tPvRmT1_T2_T3_mT4_P12ihipStream_tbEUlT_E1_NS1_11comp_targetILNS1_3genE9ELNS1_11target_archE1100ELNS1_3gpuE3ELNS1_3repE0EEENS1_30default_config_static_selectorELNS0_4arch9wavefront6targetE0EEEvSR_, .Lfunc_end34-_ZN7rocprim17ROCPRIM_400000_NS6detail17trampoline_kernelINS0_14default_configENS1_22reduce_config_selectorI18summary_stats_dataIfEEEZNS1_11reduce_implILb1ES3_N6thrust23THRUST_200600_302600_NS11hip_rocprim26transform_input_iterator_tIS6_NSA_6detail15normal_iteratorINSA_10device_ptrIfEEEE22summary_stats_unary_opIfEEEPS6_S6_23summary_stats_binary_opIfEEE10hipError_tPvRmT1_T2_T3_mT4_P12ihipStream_tbEUlT_E1_NS1_11comp_targetILNS1_3genE9ELNS1_11target_archE1100ELNS1_3gpuE3ELNS1_3repE0EEENS1_30default_config_static_selectorELNS0_4arch9wavefront6targetE0EEEvSR_
                                        ; -- End function
	.set _ZN7rocprim17ROCPRIM_400000_NS6detail17trampoline_kernelINS0_14default_configENS1_22reduce_config_selectorI18summary_stats_dataIfEEEZNS1_11reduce_implILb1ES3_N6thrust23THRUST_200600_302600_NS11hip_rocprim26transform_input_iterator_tIS6_NSA_6detail15normal_iteratorINSA_10device_ptrIfEEEE22summary_stats_unary_opIfEEEPS6_S6_23summary_stats_binary_opIfEEE10hipError_tPvRmT1_T2_T3_mT4_P12ihipStream_tbEUlT_E1_NS1_11comp_targetILNS1_3genE9ELNS1_11target_archE1100ELNS1_3gpuE3ELNS1_3repE0EEENS1_30default_config_static_selectorELNS0_4arch9wavefront6targetE0EEEvSR_.num_vgpr, 0
	.set _ZN7rocprim17ROCPRIM_400000_NS6detail17trampoline_kernelINS0_14default_configENS1_22reduce_config_selectorI18summary_stats_dataIfEEEZNS1_11reduce_implILb1ES3_N6thrust23THRUST_200600_302600_NS11hip_rocprim26transform_input_iterator_tIS6_NSA_6detail15normal_iteratorINSA_10device_ptrIfEEEE22summary_stats_unary_opIfEEEPS6_S6_23summary_stats_binary_opIfEEE10hipError_tPvRmT1_T2_T3_mT4_P12ihipStream_tbEUlT_E1_NS1_11comp_targetILNS1_3genE9ELNS1_11target_archE1100ELNS1_3gpuE3ELNS1_3repE0EEENS1_30default_config_static_selectorELNS0_4arch9wavefront6targetE0EEEvSR_.num_agpr, 0
	.set _ZN7rocprim17ROCPRIM_400000_NS6detail17trampoline_kernelINS0_14default_configENS1_22reduce_config_selectorI18summary_stats_dataIfEEEZNS1_11reduce_implILb1ES3_N6thrust23THRUST_200600_302600_NS11hip_rocprim26transform_input_iterator_tIS6_NSA_6detail15normal_iteratorINSA_10device_ptrIfEEEE22summary_stats_unary_opIfEEEPS6_S6_23summary_stats_binary_opIfEEE10hipError_tPvRmT1_T2_T3_mT4_P12ihipStream_tbEUlT_E1_NS1_11comp_targetILNS1_3genE9ELNS1_11target_archE1100ELNS1_3gpuE3ELNS1_3repE0EEENS1_30default_config_static_selectorELNS0_4arch9wavefront6targetE0EEEvSR_.numbered_sgpr, 0
	.set _ZN7rocprim17ROCPRIM_400000_NS6detail17trampoline_kernelINS0_14default_configENS1_22reduce_config_selectorI18summary_stats_dataIfEEEZNS1_11reduce_implILb1ES3_N6thrust23THRUST_200600_302600_NS11hip_rocprim26transform_input_iterator_tIS6_NSA_6detail15normal_iteratorINSA_10device_ptrIfEEEE22summary_stats_unary_opIfEEEPS6_S6_23summary_stats_binary_opIfEEE10hipError_tPvRmT1_T2_T3_mT4_P12ihipStream_tbEUlT_E1_NS1_11comp_targetILNS1_3genE9ELNS1_11target_archE1100ELNS1_3gpuE3ELNS1_3repE0EEENS1_30default_config_static_selectorELNS0_4arch9wavefront6targetE0EEEvSR_.num_named_barrier, 0
	.set _ZN7rocprim17ROCPRIM_400000_NS6detail17trampoline_kernelINS0_14default_configENS1_22reduce_config_selectorI18summary_stats_dataIfEEEZNS1_11reduce_implILb1ES3_N6thrust23THRUST_200600_302600_NS11hip_rocprim26transform_input_iterator_tIS6_NSA_6detail15normal_iteratorINSA_10device_ptrIfEEEE22summary_stats_unary_opIfEEEPS6_S6_23summary_stats_binary_opIfEEE10hipError_tPvRmT1_T2_T3_mT4_P12ihipStream_tbEUlT_E1_NS1_11comp_targetILNS1_3genE9ELNS1_11target_archE1100ELNS1_3gpuE3ELNS1_3repE0EEENS1_30default_config_static_selectorELNS0_4arch9wavefront6targetE0EEEvSR_.private_seg_size, 0
	.set _ZN7rocprim17ROCPRIM_400000_NS6detail17trampoline_kernelINS0_14default_configENS1_22reduce_config_selectorI18summary_stats_dataIfEEEZNS1_11reduce_implILb1ES3_N6thrust23THRUST_200600_302600_NS11hip_rocprim26transform_input_iterator_tIS6_NSA_6detail15normal_iteratorINSA_10device_ptrIfEEEE22summary_stats_unary_opIfEEEPS6_S6_23summary_stats_binary_opIfEEE10hipError_tPvRmT1_T2_T3_mT4_P12ihipStream_tbEUlT_E1_NS1_11comp_targetILNS1_3genE9ELNS1_11target_archE1100ELNS1_3gpuE3ELNS1_3repE0EEENS1_30default_config_static_selectorELNS0_4arch9wavefront6targetE0EEEvSR_.uses_vcc, 0
	.set _ZN7rocprim17ROCPRIM_400000_NS6detail17trampoline_kernelINS0_14default_configENS1_22reduce_config_selectorI18summary_stats_dataIfEEEZNS1_11reduce_implILb1ES3_N6thrust23THRUST_200600_302600_NS11hip_rocprim26transform_input_iterator_tIS6_NSA_6detail15normal_iteratorINSA_10device_ptrIfEEEE22summary_stats_unary_opIfEEEPS6_S6_23summary_stats_binary_opIfEEE10hipError_tPvRmT1_T2_T3_mT4_P12ihipStream_tbEUlT_E1_NS1_11comp_targetILNS1_3genE9ELNS1_11target_archE1100ELNS1_3gpuE3ELNS1_3repE0EEENS1_30default_config_static_selectorELNS0_4arch9wavefront6targetE0EEEvSR_.uses_flat_scratch, 0
	.set _ZN7rocprim17ROCPRIM_400000_NS6detail17trampoline_kernelINS0_14default_configENS1_22reduce_config_selectorI18summary_stats_dataIfEEEZNS1_11reduce_implILb1ES3_N6thrust23THRUST_200600_302600_NS11hip_rocprim26transform_input_iterator_tIS6_NSA_6detail15normal_iteratorINSA_10device_ptrIfEEEE22summary_stats_unary_opIfEEEPS6_S6_23summary_stats_binary_opIfEEE10hipError_tPvRmT1_T2_T3_mT4_P12ihipStream_tbEUlT_E1_NS1_11comp_targetILNS1_3genE9ELNS1_11target_archE1100ELNS1_3gpuE3ELNS1_3repE0EEENS1_30default_config_static_selectorELNS0_4arch9wavefront6targetE0EEEvSR_.has_dyn_sized_stack, 0
	.set _ZN7rocprim17ROCPRIM_400000_NS6detail17trampoline_kernelINS0_14default_configENS1_22reduce_config_selectorI18summary_stats_dataIfEEEZNS1_11reduce_implILb1ES3_N6thrust23THRUST_200600_302600_NS11hip_rocprim26transform_input_iterator_tIS6_NSA_6detail15normal_iteratorINSA_10device_ptrIfEEEE22summary_stats_unary_opIfEEEPS6_S6_23summary_stats_binary_opIfEEE10hipError_tPvRmT1_T2_T3_mT4_P12ihipStream_tbEUlT_E1_NS1_11comp_targetILNS1_3genE9ELNS1_11target_archE1100ELNS1_3gpuE3ELNS1_3repE0EEENS1_30default_config_static_selectorELNS0_4arch9wavefront6targetE0EEEvSR_.has_recursion, 0
	.set _ZN7rocprim17ROCPRIM_400000_NS6detail17trampoline_kernelINS0_14default_configENS1_22reduce_config_selectorI18summary_stats_dataIfEEEZNS1_11reduce_implILb1ES3_N6thrust23THRUST_200600_302600_NS11hip_rocprim26transform_input_iterator_tIS6_NSA_6detail15normal_iteratorINSA_10device_ptrIfEEEE22summary_stats_unary_opIfEEEPS6_S6_23summary_stats_binary_opIfEEE10hipError_tPvRmT1_T2_T3_mT4_P12ihipStream_tbEUlT_E1_NS1_11comp_targetILNS1_3genE9ELNS1_11target_archE1100ELNS1_3gpuE3ELNS1_3repE0EEENS1_30default_config_static_selectorELNS0_4arch9wavefront6targetE0EEEvSR_.has_indirect_call, 0
	.section	.AMDGPU.csdata,"",@progbits
; Kernel info:
; codeLenInByte = 0
; TotalNumSgprs: 0
; NumVgprs: 0
; ScratchSize: 0
; MemoryBound: 0
; FloatMode: 240
; IeeeMode: 1
; LDSByteSize: 0 bytes/workgroup (compile time only)
; SGPRBlocks: 0
; VGPRBlocks: 0
; NumSGPRsForWavesPerEU: 1
; NumVGPRsForWavesPerEU: 1
; Occupancy: 16
; WaveLimiterHint : 0
; COMPUTE_PGM_RSRC2:SCRATCH_EN: 0
; COMPUTE_PGM_RSRC2:USER_SGPR: 6
; COMPUTE_PGM_RSRC2:TRAP_HANDLER: 0
; COMPUTE_PGM_RSRC2:TGID_X_EN: 1
; COMPUTE_PGM_RSRC2:TGID_Y_EN: 0
; COMPUTE_PGM_RSRC2:TGID_Z_EN: 0
; COMPUTE_PGM_RSRC2:TIDIG_COMP_CNT: 0
	.section	.text._ZN7rocprim17ROCPRIM_400000_NS6detail17trampoline_kernelINS0_14default_configENS1_22reduce_config_selectorI18summary_stats_dataIfEEEZNS1_11reduce_implILb1ES3_N6thrust23THRUST_200600_302600_NS11hip_rocprim26transform_input_iterator_tIS6_NSA_6detail15normal_iteratorINSA_10device_ptrIfEEEE22summary_stats_unary_opIfEEEPS6_S6_23summary_stats_binary_opIfEEE10hipError_tPvRmT1_T2_T3_mT4_P12ihipStream_tbEUlT_E1_NS1_11comp_targetILNS1_3genE8ELNS1_11target_archE1030ELNS1_3gpuE2ELNS1_3repE0EEENS1_30default_config_static_selectorELNS0_4arch9wavefront6targetE0EEEvSR_,"axG",@progbits,_ZN7rocprim17ROCPRIM_400000_NS6detail17trampoline_kernelINS0_14default_configENS1_22reduce_config_selectorI18summary_stats_dataIfEEEZNS1_11reduce_implILb1ES3_N6thrust23THRUST_200600_302600_NS11hip_rocprim26transform_input_iterator_tIS6_NSA_6detail15normal_iteratorINSA_10device_ptrIfEEEE22summary_stats_unary_opIfEEEPS6_S6_23summary_stats_binary_opIfEEE10hipError_tPvRmT1_T2_T3_mT4_P12ihipStream_tbEUlT_E1_NS1_11comp_targetILNS1_3genE8ELNS1_11target_archE1030ELNS1_3gpuE2ELNS1_3repE0EEENS1_30default_config_static_selectorELNS0_4arch9wavefront6targetE0EEEvSR_,comdat
	.protected	_ZN7rocprim17ROCPRIM_400000_NS6detail17trampoline_kernelINS0_14default_configENS1_22reduce_config_selectorI18summary_stats_dataIfEEEZNS1_11reduce_implILb1ES3_N6thrust23THRUST_200600_302600_NS11hip_rocprim26transform_input_iterator_tIS6_NSA_6detail15normal_iteratorINSA_10device_ptrIfEEEE22summary_stats_unary_opIfEEEPS6_S6_23summary_stats_binary_opIfEEE10hipError_tPvRmT1_T2_T3_mT4_P12ihipStream_tbEUlT_E1_NS1_11comp_targetILNS1_3genE8ELNS1_11target_archE1030ELNS1_3gpuE2ELNS1_3repE0EEENS1_30default_config_static_selectorELNS0_4arch9wavefront6targetE0EEEvSR_ ; -- Begin function _ZN7rocprim17ROCPRIM_400000_NS6detail17trampoline_kernelINS0_14default_configENS1_22reduce_config_selectorI18summary_stats_dataIfEEEZNS1_11reduce_implILb1ES3_N6thrust23THRUST_200600_302600_NS11hip_rocprim26transform_input_iterator_tIS6_NSA_6detail15normal_iteratorINSA_10device_ptrIfEEEE22summary_stats_unary_opIfEEEPS6_S6_23summary_stats_binary_opIfEEE10hipError_tPvRmT1_T2_T3_mT4_P12ihipStream_tbEUlT_E1_NS1_11comp_targetILNS1_3genE8ELNS1_11target_archE1030ELNS1_3gpuE2ELNS1_3repE0EEENS1_30default_config_static_selectorELNS0_4arch9wavefront6targetE0EEEvSR_
	.globl	_ZN7rocprim17ROCPRIM_400000_NS6detail17trampoline_kernelINS0_14default_configENS1_22reduce_config_selectorI18summary_stats_dataIfEEEZNS1_11reduce_implILb1ES3_N6thrust23THRUST_200600_302600_NS11hip_rocprim26transform_input_iterator_tIS6_NSA_6detail15normal_iteratorINSA_10device_ptrIfEEEE22summary_stats_unary_opIfEEEPS6_S6_23summary_stats_binary_opIfEEE10hipError_tPvRmT1_T2_T3_mT4_P12ihipStream_tbEUlT_E1_NS1_11comp_targetILNS1_3genE8ELNS1_11target_archE1030ELNS1_3gpuE2ELNS1_3repE0EEENS1_30default_config_static_selectorELNS0_4arch9wavefront6targetE0EEEvSR_
	.p2align	8
	.type	_ZN7rocprim17ROCPRIM_400000_NS6detail17trampoline_kernelINS0_14default_configENS1_22reduce_config_selectorI18summary_stats_dataIfEEEZNS1_11reduce_implILb1ES3_N6thrust23THRUST_200600_302600_NS11hip_rocprim26transform_input_iterator_tIS6_NSA_6detail15normal_iteratorINSA_10device_ptrIfEEEE22summary_stats_unary_opIfEEEPS6_S6_23summary_stats_binary_opIfEEE10hipError_tPvRmT1_T2_T3_mT4_P12ihipStream_tbEUlT_E1_NS1_11comp_targetILNS1_3genE8ELNS1_11target_archE1030ELNS1_3gpuE2ELNS1_3repE0EEENS1_30default_config_static_selectorELNS0_4arch9wavefront6targetE0EEEvSR_,@function
_ZN7rocprim17ROCPRIM_400000_NS6detail17trampoline_kernelINS0_14default_configENS1_22reduce_config_selectorI18summary_stats_dataIfEEEZNS1_11reduce_implILb1ES3_N6thrust23THRUST_200600_302600_NS11hip_rocprim26transform_input_iterator_tIS6_NSA_6detail15normal_iteratorINSA_10device_ptrIfEEEE22summary_stats_unary_opIfEEEPS6_S6_23summary_stats_binary_opIfEEE10hipError_tPvRmT1_T2_T3_mT4_P12ihipStream_tbEUlT_E1_NS1_11comp_targetILNS1_3genE8ELNS1_11target_archE1030ELNS1_3gpuE2ELNS1_3repE0EEENS1_30default_config_static_selectorELNS0_4arch9wavefront6targetE0EEEvSR_: ; @_ZN7rocprim17ROCPRIM_400000_NS6detail17trampoline_kernelINS0_14default_configENS1_22reduce_config_selectorI18summary_stats_dataIfEEEZNS1_11reduce_implILb1ES3_N6thrust23THRUST_200600_302600_NS11hip_rocprim26transform_input_iterator_tIS6_NSA_6detail15normal_iteratorINSA_10device_ptrIfEEEE22summary_stats_unary_opIfEEEPS6_S6_23summary_stats_binary_opIfEEE10hipError_tPvRmT1_T2_T3_mT4_P12ihipStream_tbEUlT_E1_NS1_11comp_targetILNS1_3genE8ELNS1_11target_archE1030ELNS1_3gpuE2ELNS1_3repE0EEENS1_30default_config_static_selectorELNS0_4arch9wavefront6targetE0EEEvSR_
; %bb.0:
	s_clause 0x3
	s_load_dword s26, s[4:5], 0x4
	s_load_dwordx2 s[20:21], s[4:5], 0x8
	s_load_dwordx8 s[8:15], s[4:5], 0x18
	s_load_dwordx4 s[16:19], s[4:5], 0x38
	s_waitcnt lgkmcnt(0)
	s_cmp_lt_i32 s26, 2
	s_cbranch_scc1 .LBB35_9
; %bb.1:
	s_cmp_gt_i32 s26, 3
	s_cbranch_scc0 .LBB35_10
; %bb.2:
	s_cmp_eq_u32 s26, 4
	s_mov_b32 s27, 0
	s_cbranch_scc0 .LBB35_11
; %bb.3:
	s_mov_b32 s7, 0
	s_lshl_b32 s24, s6, 10
	s_mov_b32 s25, s7
	s_lshr_b64 s[2:3], s[8:9], 10
	s_lshl_b64 s[0:1], s[24:25], 2
	s_add_u32 s22, s20, s0
	s_addc_u32 s23, s21, s1
	s_cmp_lg_u64 s[2:3], s[6:7]
	s_cbranch_scc0 .LBB35_20
; %bb.4:
	v_lshlrev_b32_e32 v1, 2, v0
	s_clause 0x1
	global_load_dword v6, v1, s[22:23]
	global_load_dword v11, v1, s[22:23] offset:1024
	v_add_co_u32 v1, s0, s22, v1
	v_add_co_ci_u32_e64 v2, null, s23, 0, s0
	v_add_co_u32 v1, vcc_lo, 0x800, v1
	v_add_co_ci_u32_e64 v2, null, 0, v2, vcc_lo
	s_clause 0x1
	global_load_dword v10, v[1:2], off
	global_load_dword v5, v[1:2], off offset:1024
	v_mov_b32_e32 v1, 4.0
	v_mov_b32_dpp v8, v1 quad_perm:[1,0,3,2] row_mask:0xf bank_mask:0xf
	v_mov_b32_e32 v1, 0
	v_add_f32_e32 v3, 4.0, v8
	v_mul_f32_e32 v24, v8, v8
	v_add_f32_e32 v21, -4.0, v8
	v_mul_f32_e32 v15, v3, v3
	v_fma_f32 v2, -4.0, v8, v24
	v_mov_b32_dpp v12, v3 quad_perm:[2,3,0,1] row_mask:0xf bank_mask:0xf
	v_mul_f32_e32 v27, v3, v15
	v_add_f32_e32 v29, 0x41800000, v2
	v_add_f32_e32 v7, v3, v12
	v_mul_f32_e32 v26, v12, v12
	v_sub_f32_e32 v30, v12, v3
	v_mul_f32_e32 v16, v7, v7
	v_fma_f32 v31, -v3, v12, v26
	v_mov_b32_dpp v14, v7 row_ror:4 row_mask:0xf bank_mask:0xf
	v_mul_f32_e32 v25, v7, v16
	v_fmac_f32_e32 v31, v3, v3
	v_add_f32_e32 v4, v7, v14
	v_mul_f32_e32 v23, v14, v14
	v_sub_f32_e32 v28, v14, v7
	v_mul_f32_e32 v9, v4, v4
	v_fma_f32 v19, -v7, v14, v23
	v_mov_b32_dpp v13, v4 row_ror:8 row_mask:0xf bank_mask:0xf
	v_mul_f32_e32 v18, v4, v9
	v_fmac_f32_e32 v19, v7, v7
	v_add_f32_e32 v2, v4, v13
	v_sub_f32_e32 v22, v13, v4
	v_mul_f32_e32 v20, v13, v13
	s_waitcnt vmcnt(2)
	v_cmp_lt_f32_e32 vcc_lo, v11, v6
	v_sub_f32_e32 v17, v11, v6
	v_cndmask_b32_e32 v32, v6, v11, vcc_lo
	v_cmp_lt_f32_e32 vcc_lo, v6, v11
	v_mul_f32_e32 v33, v17, v17
	v_mul_f32_e32 v34, 0x40400000, v17
	v_mul_f32_e32 v35, 4.0, v17
	v_cndmask_b32_e32 v11, v6, v11, vcc_lo
	s_waitcnt vmcnt(1)
	v_cmp_lt_f32_e32 vcc_lo, v10, v32
	v_fmac_f32_e32 v6, 0.5, v17
	v_mul_f32_e32 v36, v17, v33
	v_mul_f32_e32 v38, 0x40c00000, v33
	v_mul_f32_e32 v37, 0.5, v33
	v_cndmask_b32_e32 v32, v32, v10, vcc_lo
	v_cmp_lt_f32_e32 vcc_lo, v11, v10
	v_sub_f32_e32 v39, v10, v6
	v_mul_f32_e32 v17, v17, v36
	v_mul_f32_e32 v36, 0, v36
	s_waitcnt vmcnt(0)
	v_cmp_lt_f32_e64 s0, v5, v32
	v_cndmask_b32_e32 v10, v11, v10, vcc_lo
	v_fma_f32 v11, v33, -0.5, 0
	v_mul_f32_e32 v40, v39, v39
	v_div_scale_f32 v41, null, 0x40400000, 0x40400000, v39
	v_mul_f32_e32 v43, 0x40400000, v39
	v_cndmask_b32_e64 v32, v32, v5, s0
	v_cmp_lt_f32_e64 s0, v10, v5
	v_fmamk_f32 v45, v17, 0x3e000000, v1
	v_mul_f32_e32 v17, v39, v40
	v_rcp_f32_e32 v46, v41
	v_add_f32_e32 v47, v40, v40
	v_cndmask_b32_e64 v10, v10, v5, s0
	v_mul_f32_e32 v43, v11, v43
	v_mul_f32_e32 v11, 0x40c00000, v40
	v_mov_b32_dpp v40, v32 quad_perm:[1,0,3,2] row_mask:0xf bank_mask:0xf
	v_mul_f32_e32 v34, 0, v34
	v_mul_f32_e32 v38, 0, v38
	v_fma_f32 v36, 0x3e800000, v36, 0
	v_mov_b32_dpp v48, v10 quad_perm:[1,0,3,2] row_mask:0xf bank_mask:0xf
	v_cmp_lt_f32_e64 s2, v32, v40
	v_add_f32_e32 v50, v17, v17
	v_fmac_f32_e32 v45, 0x3e800000, v38
	v_fmac_f32_e32 v36, 0.5, v34
	v_mul_f32_e32 v34, v39, v17
	v_div_scale_f32 v38, null, 0x40400000, 0x40400000, v47
	v_mul_f32_e32 v37, v37, v11
	v_cndmask_b32_e64 v11, v40, v32, s2
	v_cmp_gt_f32_e64 s2, v10, v48
	v_fma_f32 v17, -v41, v46, 1.0
	v_div_scale_f32 v42, vcc_lo, v39, 0x40400000, v39
	v_div_scale_f32 v51, null, 0x40400000, 0x40400000, v43
	v_cndmask_b32_e64 v10, v48, v10, s2
	v_rcp_f32_e32 v32, v38
	v_mov_b32_dpp v54, v11 quad_perm:[2,3,0,1] row_mask:0xf bank_mask:0xf
	v_fmac_f32_e32 v46, v17, v46
	v_rcp_f32_e32 v48, v51
	v_mov_b32_dpp v17, v10 quad_perm:[2,3,0,1] row_mask:0xf bank_mask:0xf
	v_mul_f32_e32 v35, 0, v35
	v_cmp_lt_f32_e64 s3, v11, v54
	v_mul_f32_e32 v57, v42, v46
	v_div_scale_f32 v49, s0, v47, 0x40400000, v47
	v_fmac_f32_e32 v45, 0.5, v35
	v_cndmask_b32_e64 v11, v54, v11, s3
	v_fma_f32 v54, -v38, v32, 1.0
	v_fma_f32 v59, -v41, v57, v42
	v_cmp_gt_f32_e64 s3, v10, v17
	v_div_scale_f32 v35, null, 0x41100000, 0x41100000, v50
	v_div_scale_f32 v53, null, 0x41100000, 0x41100000, v37
	v_cndmask_b32_e64 v10, v17, v10, s3
	v_fma_f32 v17, -v51, v48, 1.0
	v_fmac_f32_e32 v32, v54, v32
	v_mov_b32_dpp v54, v11 row_ror:4 row_mask:0xf bank_mask:0xf
	v_fmac_f32_e32 v57, v59, v46
	v_mul_f32_e32 v44, 4.0, v39
	v_rcp_f32_e32 v55, v35
	v_rcp_f32_e32 v56, v53
	v_fmac_f32_e32 v48, v17, v48
	v_cmp_lt_f32_e64 s3, v11, v54
	v_fma_f32 v17, -v41, v57, v42
	v_mul_f32_e32 v41, v49, v32
	v_mov_b32_dpp v42, v10 row_ror:4 row_mask:0xf bank_mask:0xf
	v_add_f32_e32 v34, v34, v34
	v_mul_f32_e64 v44, v44, -v36
	v_cndmask_b32_e64 v11, v54, v11, s3
	v_div_fmas_f32 v46, v17, v46, v57
	v_fma_f32 v54, -v38, v41, v49
	v_cmp_gt_f32_e32 vcc_lo, v10, v42
	v_mul_f32_e32 v34, 0x40400000, v34
	v_div_scale_f32 v58, null, 0x40400000, 0x40400000, v44
	v_fma_f32 v57, -v35, v55, 1.0
	v_cndmask_b32_e32 v17, v42, v10, vcc_lo
	v_fma_f32 v10, -v53, v56, 1.0
	v_fmac_f32_e32 v41, v54, v32
	v_div_scale_f32 v52, s1, v43, 0x40400000, v43
	v_div_scale_f32 v40, s2, v50, 0x41100000, v50
	v_div_scale_f32 v59, null, 0x41d80000, 0x41d80000, v34
	v_rcp_f32_e32 v60, v58
	v_fmac_f32_e32 v55, v57, v55
	v_fmac_f32_e32 v56, v10, v56
	v_fma_f32 v10, -v38, v41, v49
	v_mov_b32_dpp v49, v11 row_ror:8 row_mask:0xf bank_mask:0xf
	s_mov_b32 vcc_lo, s0
	v_rcp_f32_e32 v42, v59
	v_mul_f32_e32 v54, v52, v48
	v_div_fmas_f32 v32, v10, v32, v41
	v_mul_f32_e32 v10, v40, v55
	v_cmp_lt_f32_e32 vcc_lo, v11, v49
	v_fma_f32 v38, -v58, v60, 1.0
	v_fma_f32 v41, -v51, v54, v52
	v_div_fixup_f32 v39, v46, 0x40400000, v39
	v_div_scale_f32 v46, s4, v34, 0x41d80000, v34
	v_cndmask_b32_e32 v11, v49, v11, vcc_lo
	v_fma_f32 v49, -v35, v10, v40
	v_fmac_f32_e32 v60, v38, v60
	v_fma_f32 v38, -v59, v42, 1.0
	v_fmac_f32_e32 v54, v41, v48
	v_div_scale_f32 v41, s0, v37, 0x41100000, v37
	v_fmac_f32_e32 v10, v49, v55
	v_fmac_f32_e32 v42, v38, v42
	s_mov_b32 vcc_lo, s2
	v_mul_f32_e32 v49, v41, v56
	v_div_scale_f32 v38, s3, v44, 0x40400000, v44
	v_fma_f32 v35, -v35, v10, v40
	v_fma_f32 v51, -v51, v54, v52
	v_fma_f32 v40, -v53, v49, v41
	v_mul_f32_e32 v52, v38, v60
	v_add_f32_e32 v39, v6, v39
	v_div_fmas_f32 v35, v35, v55, v10
	v_mul_f32_e32 v55, v46, v42
	v_fmac_f32_e32 v49, v40, v56
	v_fma_f32 v57, -v58, v52, v38
	v_div_fixup_f32 v32, v32, 0x40400000, v47
	v_sub_f32_e32 v5, v5, v39
	v_fma_f32 v40, -v59, v55, v46
	s_mov_b32 vcc_lo, s1
	v_fmac_f32_e32 v52, v57, v60
	v_fmac_f32_e32 v32, 0.5, v33
	v_div_fixup_f32 v33, v35, 0x41100000, v50
	v_fmac_f32_e32 v55, v40, v42
	v_div_fmas_f32 v40, v51, v48, v54
	v_fmac_f32_e32 v39, 0x3e800000, v5
	v_mul_f32_e32 v47, 0x40400000, v5
	v_fma_f32 v41, -v53, v49, v41
	v_fma_f32 v35, -v59, v55, v46
	v_mul_f32_e32 v46, v5, v5
	s_mov_b32 vcc_lo, s4
	v_fma_f32 v38, -v58, v52, v38
	v_div_fixup_f32 v40, v40, 0x40400000, v43
	v_add_f32_e32 v33, v36, v33
	v_div_fmas_f32 v35, v35, v42, v55
	v_mul_f32_e32 v36, v5, v46
	v_mul_f32_e64 v43, v47, -v32
	v_mov_b32_dpp v47, v39 quad_perm:[1,0,3,2] row_mask:0xf bank_mask:0xf
	s_mov_b32 vcc_lo, s0
	v_mul_f32_e32 v48, 4.0, v5
	v_div_fmas_f32 v41, v41, v56, v49
	s_mov_b32 vcc_lo, s3
	v_mul_f32_e32 v42, 0x40400000, v46
	v_div_fmas_f32 v38, v38, v60, v52
	v_div_fixup_f32 v34, v35, 0x41d80000, v34
	v_mul_f32_e32 v5, v5, v36
	v_mul_f32_e32 v36, 0x40400000, v36
	v_sub_f32_e32 v39, v39, v47
	v_add_f32_e32 v33, v40, v33
	v_fmamk_f32 v35, v42, 0x3e800000, v32
	v_div_fixup_f32 v37, v41, 0x41100000, v37
	v_div_fixup_f32 v38, v38, 0x40400000, v44
	v_add_f32_e32 v34, v45, v34
	v_add_f32_e32 v36, v36, v36
	v_mul_f32_e32 v42, v39, v39
	v_mul_f32_e32 v44, 4.0, v39
	v_mul_f32_e32 v5, 0x40400000, v5
	v_mul_f32_e64 v40, v48, -v33
	v_mov_b32_dpp v41, v35 quad_perm:[1,0,3,2] row_mask:0xf bank_mask:0xf
	v_mul_f32_e32 v24, v24, v35
	v_add_f32_e32 v34, v37, v34
	v_fmamk_f32 v33, v36, 0x3d800000, v33
	v_mul_f32_e32 v36, v39, v42
	v_div_scale_f32 v37, null, v3, v3, v44
	v_mul_f32_e32 v49, v42, v8
	v_mul_f32_e32 v46, 0x40c00000, v46
	;; [unrolled: 1-line block ×4, first 2 shown]
	v_add_f32_e32 v48, v35, v41
	v_mul_f32_e32 v50, -4.0, v41
	v_fmac_f32_e32 v24, 0x41800000, v41
	v_add_f32_e32 v34, v38, v34
	v_mul_f32_e32 v38, v39, v36
	v_rcp_f32_e32 v39, v37
	v_mul_f32_e32 v41, 4.0, v49
	v_mul_f32_e32 v32, v32, v46
	v_fmac_f32_e32 v50, v35, v8
	v_fmamk_f32 v5, v5, 0x3c800000, v34
	v_mul_f32_e32 v42, 0x40c00000, v42
	v_div_scale_f32 v35, null, v3, v3, v41
	v_fmac_f32_e32 v33, 0x3e800000, v43
	v_mul_f32_e32 v43, v45, v50
	v_fmac_f32_e32 v5, 0x3d800000, v32
	v_fma_f32 v32, -v37, v39, 1.0
	v_rcp_f32_e32 v50, v35
	v_div_scale_f32 v46, vcc_lo, v44, v3, v44
	v_mul_f32_e32 v36, v36, v8
	v_mul_f32_e32 v24, v42, v24
	v_mov_b32_dpp v34, v33 quad_perm:[1,0,3,2] row_mask:0xf bank_mask:0xf
	v_fmac_f32_e32 v39, v32, v39
	v_mul_f32_e32 v38, v38, v8
	v_mul_f32_e32 v36, 4.0, v36
	v_div_scale_f32 v45, null, v15, v15, v24
	v_add_f32_e32 v51, v33, v34
	v_mul_f32_e32 v34, -4.0, v34
	v_mul_f32_e32 v55, v46, v39
	v_fma_f32 v56, -v35, v50, 1.0
	v_div_scale_f32 v42, s0, v41, v3, v41
	v_mul_f32_e32 v21, v21, v36
	v_div_scale_f32 v36, null, v3, v3, v43
	v_mul_f32_e32 v38, 4.0, v38
	v_rcp_f32_e32 v53, v45
	v_fmac_f32_e32 v34, v33, v8
	v_fma_f32 v33, -v37, v55, v46
	v_fmac_f32_e32 v50, v56, v50
	v_div_scale_f32 v32, null, v15, v15, v21
	v_rcp_f32_e32 v54, v36
	v_mul_f32_e32 v29, v29, v38
	v_fmac_f32_e32 v55, v33, v39
	v_mul_f32_e32 v33, v42, v50
	v_rcp_f32_e32 v38, v32
	v_fma_f32 v59, -v45, v53, 1.0
	v_div_scale_f32 v56, null, v27, v27, v29
	v_fma_f32 v37, -v37, v55, v46
	v_mul_f32_e32 v34, v44, v34
	v_fma_f32 v46, -v35, v33, v42
	v_div_scale_f32 v49, s1, v24, v15, v24
	v_div_fmas_f32 v37, v37, v39, v55
	v_fma_f32 v39, -v36, v54, 1.0
	v_rcp_f32_e32 v55, v56
	v_fmac_f32_e32 v53, v59, v53
	v_fmac_f32_e32 v33, v46, v50
	v_div_scale_f32 v46, null, v3, v3, v34
	v_div_scale_f32 v52, s2, v43, v3, v43
	v_fmac_f32_e32 v5, 0x3e800000, v40
	v_fma_f32 v59, -v32, v38, 1.0
	v_fmac_f32_e32 v54, v39, v54
	v_mul_f32_e32 v39, v49, v53
	v_fma_f32 v35, -v35, v33, v42
	v_rcp_f32_e32 v42, v46
	s_mov_b32 vcc_lo, s0
	v_div_scale_f32 v40, s3, v21, v15, v21
	v_mov_b32_dpp v8, v5 quad_perm:[1,0,3,2] row_mask:0xf bank_mask:0xf
	v_fmac_f32_e32 v38, v59, v38
	v_fma_f32 v59, -v56, v55, 1.0
	v_div_fmas_f32 v33, v35, v50, v33
	v_mul_f32_e32 v35, v52, v54
	v_fma_f32 v50, -v45, v39, v49
	v_div_scale_f32 v58, s4, v29, v27, v29
	v_add_f32_e32 v5, v5, v8
	v_mul_f32_e32 v8, v40, v38
	v_fmac_f32_e32 v55, v59, v55
	v_fma_f32 v59, -v36, v35, v52
	v_fmac_f32_e32 v39, v50, v53
	v_div_fixup_f32 v37, v37, v3, v44
	v_fma_f32 v44, -v46, v42, 1.0
	v_div_scale_f32 v50, s0, v34, v3, v34
	v_fmac_f32_e32 v35, v59, v54
	v_fma_f32 v59, -v32, v8, v40
	v_fma_f32 v45, -v45, v39, v49
	v_mul_f32_e32 v49, v58, v55
	v_fmac_f32_e32 v42, v44, v42
	v_add_f32_e32 v37, v37, v47
	v_fmac_f32_e32 v8, v59, v38
	v_div_fixup_f32 v33, v33, v3, v41
	v_fma_f32 v47, -v56, v49, v58
	v_mul_f32_e32 v59, v50, v42
	v_mov_b32_dpp v41, v37 quad_perm:[2,3,0,1] row_mask:0xf bank_mask:0xf
	v_fma_f32 v32, -v32, v8, v40
	v_fma_f32 v36, -v36, v35, v52
	v_fmac_f32_e32 v49, v47, v55
	v_fma_f32 v40, -v46, v59, v50
	s_mov_b32 vcc_lo, s3
	v_add_f32_e32 v33, v48, v33
	v_div_fmas_f32 v8, v32, v38, v8
	v_fma_f32 v32, -v56, v49, v58
	v_fmac_f32_e32 v59, v40, v42
	v_sub_f32_e32 v37, v37, v41
	s_mov_b32 vcc_lo, s2
	v_div_fixup_f32 v8, v8, v15, v21
	v_div_fmas_f32 v35, v36, v54, v35
	s_mov_b32 vcc_lo, s4
	v_mov_b32_dpp v36, v33 quad_perm:[2,3,0,1] row_mask:0xf bank_mask:0xf
	v_div_fmas_f32 v21, v32, v55, v49
	v_fma_f32 v32, -v46, v59, v50
	v_mul_f32_e32 v38, v37, v37
	v_mul_f32_e32 v40, v3, v37
	s_mov_b32 vcc_lo, s1
	v_div_fixup_f32 v35, v35, v3, v43
	v_div_fmas_f32 v39, v45, v53, v39
	s_mov_b32 vcc_lo, s0
	v_add_f32_e32 v8, v51, v8
	v_div_fixup_f32 v21, v21, v27, v29
	v_div_fmas_f32 v27, v32, v42, v59
	v_mul_f32_e32 v29, v37, v38
	v_div_scale_f32 v32, null, v7, v7, v40
	v_mul_f32_e32 v45, v38, v12
	v_mul_f32_e32 v48, v3, v36
	;; [unrolled: 1-line block ×3, first 2 shown]
	v_add_f32_e32 v43, v33, v36
	v_mul_f32_e32 v36, v15, v36
	v_div_fixup_f32 v15, v39, v15, v24
	v_add_f32_e32 v8, v35, v8
	v_add_f32_e32 v5, v5, v21
	v_div_fixup_f32 v21, v27, v3, v34
	v_mul_f32_e32 v24, v37, v29
	v_rcp_f32_e32 v27, v32
	v_mul_f32_e32 v34, v3, v45
	v_mul_f32_e32 v29, v29, v12
	v_fma_f32 v35, v33, v12, -v48
	v_mul_f32_e32 v38, 0x40c00000, v38
	v_fmac_f32_e32 v36, v26, v33
	v_add_f32_e32 v5, v15, v5
	v_mov_b32_dpp v15, v8 quad_perm:[2,3,0,1] row_mask:0xf bank_mask:0xf
	v_div_scale_f32 v26, null, v7, v7, v34
	v_mul_f32_e32 v29, v3, v29
	v_mul_f32_e32 v35, v46, v35
	;; [unrolled: 1-line block ×3, first 2 shown]
	v_mul_f32_e32 v47, 4.0, v37
	v_mul_f32_e32 v36, v38, v36
	v_add_f32_e32 v5, v21, v5
	v_fma_f32 v21, -v32, v27, 1.0
	v_rcp_f32_e32 v37, v26
	v_mul_f32_e32 v29, v30, v29
	v_div_scale_f32 v30, null, v7, v7, v35
	v_mul_f32_e32 v24, v3, v24
	v_mul_f32_e32 v3, v3, v15
	v_div_scale_f32 v42, vcc_lo, v40, v7, v40
	v_add_f32_e32 v38, v8, v15
	v_div_scale_f32 v45, null, v16, v16, v36
	v_mov_b32_dpp v15, v5 quad_perm:[2,3,0,1] row_mask:0xf bank_mask:0xf
	v_fmac_f32_e32 v27, v21, v27
	v_div_scale_f32 v21, null, v16, v16, v29
	v_rcp_f32_e32 v49, v30
	v_mul_f32_e32 v24, v31, v24
	v_fma_f32 v3, v8, v12, -v3
	v_rcp_f32_e32 v31, v45
	v_mul_f32_e32 v8, v42, v27
	v_fma_f32 v12, -v26, v37, 1.0
	v_rcp_f32_e32 v50, v21
	v_add_f32_e32 v5, v5, v15
	v_div_scale_f32 v15, null, v25, v25, v24
	v_mul_f32_e32 v3, v47, v3
	v_div_scale_f32 v33, s0, v34, v7, v34
	v_fma_f32 v47, -v32, v8, v42
	v_fmac_f32_e32 v37, v12, v37
	v_fma_f32 v12, -v30, v49, 1.0
	v_rcp_f32_e32 v52, v15
	v_div_scale_f32 v54, null, v7, v7, v3
	v_div_scale_f32 v39, s1, v35, v7, v35
	v_fma_f32 v53, -v45, v31, 1.0
	v_fmac_f32_e32 v8, v47, v27
	v_mul_f32_e32 v47, v33, v37
	v_fma_f32 v56, -v21, v50, 1.0
	v_fmac_f32_e32 v49, v12, v49
	v_rcp_f32_e32 v12, v54
	v_div_scale_f32 v48, s3, v29, v16, v29
	v_fmac_f32_e32 v31, v53, v31
	v_fma_f32 v32, -v32, v8, v42
	v_fma_f32 v42, -v26, v47, v33
	v_fmac_f32_e32 v50, v56, v50
	v_mul_f32_e32 v53, v39, v49
	v_fma_f32 v56, -v15, v52, 1.0
	v_div_scale_f32 v51, s4, v24, v25, v24
	v_div_fmas_f32 v8, v32, v27, v8
	v_fmac_f32_e32 v47, v42, v37
	v_mul_f32_e32 v27, v48, v50
	v_fma_f32 v32, -v30, v53, v39
	v_fmac_f32_e32 v52, v56, v52
	v_fma_f32 v56, -v54, v12, 1.0
	v_div_scale_f32 v46, s2, v36, v16, v36
	v_div_scale_f32 v55, s5, v3, v7, v3
	v_div_fixup_f32 v8, v8, v7, v40
	v_fma_f32 v26, -v26, v47, v33
	v_fma_f32 v33, -v21, v27, v48
	v_fmac_f32_e32 v53, v32, v49
	v_mul_f32_e32 v32, v51, v52
	v_fmac_f32_e32 v12, v56, v12
	v_mul_f32_e32 v58, v46, v31
	s_mov_b32 vcc_lo, s0
	v_add_f32_e32 v8, v8, v41
	v_div_fmas_f32 v26, v26, v37, v47
	v_fmac_f32_e32 v27, v33, v50
	v_fma_f32 v33, -v15, v32, v51
	v_mul_f32_e32 v37, v55, v12
	v_fma_f32 v42, -v45, v58, v46
	v_div_fixup_f32 v26, v26, v7, v34
	v_fma_f32 v21, -v21, v27, v48
	v_fmac_f32_e32 v32, v33, v52
	v_fma_f32 v33, -v54, v37, v55
	v_mov_b32_dpp v34, v8 row_ror:4 row_mask:0xf bank_mask:0xf
	v_fmac_f32_e32 v58, v42, v31
	v_fma_f32 v30, -v30, v53, v39
	s_mov_b32 vcc_lo, s3
	v_add_f32_e32 v26, v43, v26
	v_div_fmas_f32 v21, v21, v50, v27
	v_fma_f32 v15, -v15, v32, v51
	v_fmac_f32_e32 v37, v33, v12
	v_sub_f32_e32 v8, v8, v34
	s_mov_b32 vcc_lo, s1
	v_fma_f32 v39, -v45, v58, v46
	v_div_fmas_f32 v27, v30, v49, v53
	s_mov_b32 vcc_lo, s4
	v_div_fixup_f32 v21, v21, v16, v29
	v_div_fmas_f32 v15, v15, v52, v32
	v_fma_f32 v29, -v54, v37, v55
	v_mov_b32_dpp v30, v26 row_ror:4 row_mask:0xf bank_mask:0xf
	v_mul_f32_e32 v32, v8, v8
	v_mul_f32_e32 v33, v7, v8
	s_mov_b32 vcc_lo, s2
	v_div_fixup_f32 v27, v27, v7, v35
	v_div_fmas_f32 v31, v39, v31, v58
	s_mov_b32 vcc_lo, s5
	v_add_f32_e32 v21, v38, v21
	v_div_fixup_f32 v15, v15, v25, v24
	v_div_fmas_f32 v12, v29, v12, v37
	v_mul_f32_e32 v24, v8, v32
	v_div_scale_f32 v25, null, v4, v4, v33
	v_mul_f32_e32 v37, v32, v14
	v_mul_f32_e32 v38, v7, v30
	;; [unrolled: 1-line block ×3, first 2 shown]
	v_mul_f32_e32 v41, 4.0, v8
	v_add_f32_e32 v35, v26, v30
	v_mul_f32_e32 v30, v16, v30
	v_div_fixup_f32 v16, v31, v16, v36
	v_add_f32_e32 v21, v27, v21
	v_add_f32_e32 v5, v5, v15
	v_div_fixup_f32 v3, v12, v7, v3
	v_mul_f32_e32 v8, v8, v24
	v_rcp_f32_e32 v12, v25
	v_mul_f32_e32 v15, v7, v37
	v_mul_f32_e32 v24, v24, v14
	v_fma_f32 v27, v26, v14, -v38
	v_mul_f32_e32 v32, 0x40c00000, v32
	v_fmac_f32_e32 v30, v23, v26
	v_add_f32_e32 v5, v16, v5
	v_div_scale_f32 v23, null, v4, v4, v15
	v_mul_f32_e32 v24, v7, v24
	v_mul_f32_e32 v27, v40, v27
	;; [unrolled: 1-line block ×3, first 2 shown]
	v_mov_b32_dpp v16, v21 row_ror:4 row_mask:0xf bank_mask:0xf
	v_mul_f32_e32 v30, v32, v30
	v_add_f32_e32 v3, v3, v5
	v_fma_f32 v5, -v25, v12, 1.0
	v_rcp_f32_e32 v31, v23
	v_mul_f32_e32 v24, v28, v24
	v_div_scale_f32 v28, null, v4, v4, v27
	v_mul_f32_e32 v8, v7, v8
	v_div_scale_f32 v29, vcc_lo, v33, v4, v33
	v_add_f32_e32 v32, v21, v16
	v_div_scale_f32 v37, null, v9, v9, v30
	v_mul_f32_e32 v7, v7, v16
	v_mov_b32_dpp v16, v3 row_ror:4 row_mask:0xf bank_mask:0xf
	v_fmac_f32_e32 v12, v5, v12
	v_div_scale_f32 v5, null, v9, v9, v24
	v_rcp_f32_e32 v40, v28
	v_mul_f32_e32 v8, v19, v8
	v_rcp_f32_e32 v19, v37
	v_fma_f32 v7, v21, v14, -v7
	v_mul_f32_e32 v14, v29, v12
	v_fma_f32 v21, -v23, v31, 1.0
	v_rcp_f32_e32 v42, v5
	v_add_f32_e32 v3, v3, v16
	v_div_scale_f32 v16, null, v18, v18, v8
	v_div_scale_f32 v26, s0, v15, v4, v15
	v_mul_f32_e32 v7, v41, v7
	v_fma_f32 v41, -v25, v14, v29
	v_fmac_f32_e32 v31, v21, v31
	v_fma_f32 v21, -v28, v40, 1.0
	v_rcp_f32_e32 v45, v16
	v_div_scale_f32 v36, s1, v27, v4, v27
	v_fma_f32 v46, -v37, v19, 1.0
	v_div_scale_f32 v47, null, v4, v4, v7
	v_fmac_f32_e32 v14, v41, v12
	v_mul_f32_e32 v41, v26, v31
	v_fma_f32 v49, -v5, v42, 1.0
	v_fmac_f32_e32 v40, v21, v40
	v_div_scale_f32 v39, s3, v24, v9, v24
	v_fmac_f32_e32 v19, v46, v19
	v_rcp_f32_e32 v21, v47
	v_fma_f32 v25, -v25, v14, v29
	v_fma_f32 v29, -v23, v41, v26
	v_fmac_f32_e32 v42, v49, v42
	v_mul_f32_e32 v46, v36, v40
	v_fma_f32 v49, -v16, v45, 1.0
	v_div_scale_f32 v38, s2, v30, v9, v30
	v_div_scale_f32 v43, s4, v8, v18, v8
	v_div_fmas_f32 v12, v25, v12, v14
	v_fmac_f32_e32 v41, v29, v31
	v_mul_f32_e32 v14, v39, v42
	v_fma_f32 v25, -v28, v46, v36
	v_fmac_f32_e32 v45, v49, v45
	v_mul_f32_e32 v50, v38, v19
	v_fma_f32 v49, -v47, v21, 1.0
	v_div_fixup_f32 v12, v12, v4, v33
	v_fma_f32 v23, -v23, v41, v26
	v_fma_f32 v26, -v5, v14, v39
	v_fmac_f32_e32 v46, v25, v40
	v_mul_f32_e32 v25, v43, v45
	v_div_scale_f32 v48, s5, v7, v4, v7
	v_fma_f32 v29, -v37, v50, v38
	v_fmac_f32_e32 v21, v49, v21
	v_add_f32_e32 v12, v12, v34
	v_fmac_f32_e32 v14, v26, v42
	v_fma_f32 v26, -v28, v46, v36
	v_fma_f32 v28, -v16, v25, v43
	s_mov_b32 vcc_lo, s0
	v_fmac_f32_e32 v50, v29, v19
	v_div_fmas_f32 v23, v23, v31, v41
	v_mul_f32_e32 v29, v48, v21
	v_fma_f32 v5, -v5, v14, v39
	v_fmac_f32_e32 v25, v28, v45
	v_mov_b32_dpp v28, v12 row_ror:8 row_mask:0xf bank_mask:0xf
	s_mov_b32 vcc_lo, s3
	v_div_fixup_f32 v15, v23, v4, v15
	v_fma_f32 v23, -v47, v29, v48
	v_div_fmas_f32 v5, v5, v42, v14
	v_fma_f32 v14, -v16, v25, v43
	v_sub_f32_e32 v12, v12, v28
	s_mov_b32 vcc_lo, s1
	v_fmac_f32_e32 v29, v23, v21
	v_div_fmas_f32 v16, v26, v40, v46
	s_mov_b32 vcc_lo, s4
	v_mul_f32_e32 v26, v4, v12
	v_div_fmas_f32 v14, v14, v45, v25
	v_fma_f32 v31, -v37, v50, v38
	v_fma_f32 v23, -v47, v29, v48
	v_mul_f32_e32 v25, v12, v12
	s_mov_b32 vcc_lo, s2
	v_div_fixup_f32 v8, v14, v18, v8
	v_div_scale_f32 v14, null, v2, v2, v26
	v_div_fmas_f32 v19, v31, v19, v50
	s_mov_b32 vcc_lo, s5
	v_div_fixup_f32 v5, v5, v9, v24
	v_mul_f32_e32 v18, v25, v13
	v_div_fmas_f32 v21, v23, v21, v29
	v_rcp_f32_e32 v23, v14
	v_div_fixup_f32 v16, v16, v4, v27
	v_add_f32_e32 v5, v32, v5
	v_mul_f32_e32 v18, v4, v18
	v_mul_f32_e32 v27, v12, v25
	v_add_f32_e32 v15, v35, v15
	v_div_scale_f32 v29, vcc_lo, v26, v2, v26
	v_div_scale_f32 v31, null, v2, v2, v18
	v_add_f32_e32 v5, v16, v5
	v_fma_f32 v16, -v14, v23, 1.0
	v_div_fixup_f32 v19, v19, v9, v30
	v_rcp_f32_e32 v30, v31
	v_add_f32_e32 v3, v3, v8
	v_mul_f32_e32 v8, v27, v13
	v_fmac_f32_e32 v23, v16, v23
	v_mov_b32_dpp v24, v15 row_ror:8 row_mask:0xf bank_mask:0xf
	v_mul_f32_e32 v10, v2, v2
	v_add_f32_e32 v3, v19, v3
	v_mul_f32_e32 v8, v4, v8
	v_mul_f32_e32 v19, v29, v23
	;; [unrolled: 1-line block ×4, first 2 shown]
	v_fma_f32 v27, -v31, v30, 1.0
	v_mul_f32_e32 v8, v22, v8
	v_fma_f32 v22, -v14, v19, v29
	v_mul_f32_e32 v33, 0x40400000, v12
	v_div_fixup_f32 v7, v21, v4, v7
	v_fma_f32 v21, v15, v13, -v32
	v_div_scale_f32 v32, s0, v18, v2, v18
	v_fmac_f32_e32 v30, v27, v30
	v_div_scale_f32 v34, null, v10, v10, v8
	v_fmac_f32_e32 v19, v22, v23
	v_fma_f32 v57, -v4, v13, v20
	v_mul_f32_e32 v22, v32, v30
	v_mul_f32_e32 v21, v33, v21
	v_add_f32_e32 v3, v7, v3
	v_rcp_f32_e32 v7, v34
	v_fma_f32 v14, -v14, v19, v29
	v_mul_f32_e32 v16, v16, v13
	v_fma_f32 v29, -v31, v22, v32
	v_div_scale_f32 v33, null, v2, v2, v21
	v_fmac_f32_e32 v57, v4, v4
	v_div_fmas_f32 v14, v14, v23, v19
	v_mul_f32_e32 v16, v4, v16
	v_mul_f32_e32 v6, v2, v10
	v_fma_f32 v23, -v34, v7, 1.0
	v_fmac_f32_e32 v22, v29, v30
	v_div_fixup_f32 v14, v14, v2, v26
	v_rcp_f32_e32 v26, v33
	v_mul_f32_e32 v16, v57, v16
	v_mul_f32_e32 v9, v9, v24
	v_mov_b32_dpp v27, v5 row_ror:8 row_mask:0xf bank_mask:0xf
	v_fmac_f32_e32 v7, v23, v7
	v_fma_f32 v23, -v31, v22, v32
	v_div_scale_f32 v29, null, v6, v6, v16
	v_mul_f32_e32 v25, 0x40c00000, v25
	v_fmac_f32_e32 v9, v20, v15
	s_mov_b32 vcc_lo, s0
	v_add_f32_e32 v14, v14, v28
	v_div_scale_f32 v28, s1, v8, v10, v8
	v_div_fmas_f32 v22, v23, v30, v22
	v_fma_f32 v30, -v33, v26, 1.0
	v_rcp_f32_e32 v31, v29
	v_mul_f32_e32 v9, v25, v9
	v_mul_f32_e32 v4, v4, v27
	;; [unrolled: 1-line block ×3, first 2 shown]
	v_div_fixup_f32 v18, v22, v2, v18
	v_fmac_f32_e32 v26, v30, v26
	v_div_scale_f32 v22, s0, v21, v2, v21
	v_div_scale_f32 v25, null, v10, v10, v9
	v_mul_f32_e32 v12, 4.0, v12
	v_fma_f32 v4, v5, v13, -v4
	v_add_f32_e32 v15, v15, v24
	v_fma_f32 v20, -v34, v23, v28
	v_fma_f32 v24, -v29, v31, 1.0
	v_mul_f32_e32 v30, v22, v26
	v_rcp_f32_e32 v13, v25
	v_mul_f32_e32 v4, v12, v4
	v_add_f32_e32 v5, v5, v27
	v_fmac_f32_e32 v31, v24, v31
	v_div_scale_f32 v24, s2, v16, v6, v16
	v_fmac_f32_e32 v23, v20, v7
	v_fma_f32 v12, -v33, v30, v22
	v_div_scale_f32 v27, null, v2, v2, v4
	v_mul_f32_e32 v20, v24, v31
	v_fma_f32 v32, -v25, v13, 1.0
	v_fma_f32 v28, -v34, v23, v28
	v_fmac_f32_e32 v30, v12, v26
	v_rcp_f32_e32 v34, v27
	s_mov_b32 vcc_lo, s1
	v_fma_f32 v12, -v29, v20, v24
	v_fmac_f32_e32 v13, v32, v13
	v_div_scale_f32 v32, s3, v9, v10, v9
	v_div_fmas_f32 v7, v28, v7, v23
	v_fma_f32 v22, -v33, v30, v22
	ds_swizzle_b32 v28, v14 offset:swizzle(BROADCAST,32,15)
	s_mov_b32 vcc_lo, s0
	v_fmac_f32_e32 v20, v12, v31
	v_mul_f32_e32 v12, v32, v13
	v_fma_f32 v23, -v27, v34, 1.0
	v_div_fmas_f32 v22, v22, v26, v30
	ds_swizzle_b32 v26, v2 offset:swizzle(BROADCAST,32,15)
	v_fma_f32 v24, -v29, v20, v24
	v_fma_f32 v29, -v25, v12, v32
	v_fmac_f32_e32 v34, v23, v34
	v_div_scale_f32 v23, s0, v4, v2, v4
	s_mov_b32 vcc_lo, s2
	v_fmac_f32_e32 v12, v29, v13
	v_div_fmas_f32 v20, v24, v31, v20
	v_mul_f32_e32 v24, v23, v34
	v_mov_b32_dpp v19, v3 row_ror:8 row_mask:0xf bank_mask:0xf
	v_div_fixup_f32 v7, v7, v10, v8
	v_fma_f32 v8, -v25, v12, v32
	v_div_fixup_f32 v6, v20, v6, v16
	v_fma_f32 v16, -v27, v24, v23
	s_waitcnt lgkmcnt(1)
	v_sub_f32_e32 v14, v14, v28
	s_mov_b32 vcc_lo, s3
	v_add_f32_e32 v3, v3, v19
	v_div_fmas_f32 v8, v8, v13, v12
	v_fmac_f32_e32 v24, v16, v34
	s_waitcnt lgkmcnt(0)
	v_add_f32_e32 v12, v2, v26
	v_mul_f32_e32 v13, v2, v14
	v_add_f32_e32 v3, v3, v6
	v_div_fixup_f32 v6, v8, v10, v9
	v_fma_f32 v8, -v27, v24, v23
	s_mov_b32 vcc_lo, s0
	v_div_scale_f32 v9, null, v12, v12, v13
	v_add_f32_e32 v5, v5, v7
	v_div_fmas_f32 v8, v8, v34, v24
	v_mov_b32_dpp v44, v17 row_ror:8 row_mask:0xf bank_mask:0xf
	v_rcp_f32_e32 v7, v9
	v_div_fixup_f32 v16, v22, v2, v21
	v_add_f32_e32 v3, v6, v3
	v_div_fixup_f32 v4, v8, v2, v4
	v_cmp_gt_f32_e32 vcc_lo, v17, v44
	v_add_f32_e32 v8, v15, v18
	v_add_f32_e32 v5, v16, v5
	ds_swizzle_b32 v16, v11 offset:swizzle(BROADCAST,32,15)
	v_add_f32_e32 v3, v4, v3
	v_mul_f32_e32 v4, v14, v14
	v_fma_f32 v15, -v9, v7, 1.0
	v_cndmask_b32_e32 v6, v44, v17, vcc_lo
	ds_swizzle_b32 v18, v8 offset:swizzle(BROADCAST,32,15)
	v_sub_f32_e32 v32, v26, v2
	v_mul_f32_e32 v19, v4, v26
	v_fmac_f32_e32 v7, v15, v7
	v_div_scale_f32 v15, vcc_lo, v13, v12, v13
	v_mul_f32_e32 v21, v14, v4
	v_mul_f32_e32 v19, v2, v19
	;; [unrolled: 1-line block ×4, first 2 shown]
	ds_swizzle_b32 v20, v5 offset:swizzle(BROADCAST,32,15)
	v_mul_f32_e32 v25, v21, v26
	v_div_scale_f32 v24, null, v12, v12, v19
	v_fma_f32 v29, -v9, v23, v15
	s_waitcnt lgkmcnt(2)
	v_cmp_lt_f32_e64 s0, v11, v16
	v_mul_f32_e32 v25, v2, v25
	v_rcp_f32_e32 v31, v24
	v_mul_f32_e32 v21, v14, v21
	v_fmac_f32_e32 v23, v29, v7
	v_cndmask_b32_e64 v11, v16, v11, s0
	v_mul_f32_e32 v16, v32, v25
	v_mul_f32_e32 v32, 0x40400000, v14
	v_mul_f32_e32 v21, v21, v26
	v_fma_f32 v9, -v9, v23, v15
	s_waitcnt lgkmcnt(1)
	v_mul_f32_e32 v15, v2, v18
	v_div_scale_f32 v29, null, v22, v22, v16
	v_fma_f32 v25, -v24, v31, 1.0
	v_div_fmas_f32 v7, v9, v7, v23
	v_mul_f32_e32 v9, v26, v26
	v_fma_f32 v15, v8, v26, -v15
	v_rcp_f32_e32 v23, v29
	v_fmac_f32_e32 v31, v25, v31
	v_mul_f32_e32 v21, v2, v21
	v_fma_f32 v25, -v2, v26, v9
	v_mul_f32_e32 v15, v32, v15
	v_div_scale_f32 v32, vcc_lo, v19, v12, v19
	v_mul_f32_e32 v10, v10, v18
	v_fmac_f32_e32 v25, v2, v2
	v_mul_f32_e32 v30, v12, v22
	v_mul_f32_e32 v34, v32, v31
	v_div_fixup_f32 v7, v7, v12, v13
	v_fma_f32 v13, -v29, v23, 1.0
	v_mul_f32_e32 v21, v25, v21
	v_mul_f32_e32 v4, 0x40c00000, v4
	v_fmac_f32_e32 v10, v9, v8
	v_div_scale_f32 v33, null, v12, v12, v15
	v_fma_f32 v25, -v24, v34, v32
	v_fmac_f32_e32 v23, v13, v23
	v_div_scale_f32 v13, null, v30, v30, v21
	v_mul_f32_e32 v4, v4, v10
	v_rcp_f32_e32 v35, v33
	v_fmac_f32_e32 v34, v25, v31
	v_rcp_f32_e32 v37, v13
	s_waitcnt lgkmcnt(0)
	v_mul_f32_e32 v2, v2, v20
	v_div_scale_f32 v25, null, v22, v22, v4
	v_mul_f32_e32 v14, 4.0, v14
	v_div_scale_f32 v9, s0, v16, v22, v16
	v_rcp_f32_e32 v39, v25
	v_fma_f32 v2, v5, v26, -v2
	v_fma_f32 v36, -v33, v35, 1.0
	v_fma_f32 v38, -v13, v37, 1.0
	v_mul_f32_e32 v10, v9, v23
	v_fma_f32 v24, -v24, v34, v32
	v_mul_f32_e32 v2, v14, v2
	v_fmac_f32_e32 v35, v36, v35
	v_div_scale_f32 v36, s1, v15, v12, v15
	v_fmac_f32_e32 v37, v38, v37
	v_fma_f32 v38, -v25, v39, 1.0
	v_div_scale_f32 v40, null, v12, v12, v2
	v_fma_f32 v26, -v29, v10, v9
	v_mul_f32_e32 v32, v36, v35
	v_div_scale_f32 v14, s2, v21, v30, v21
	v_fmac_f32_e32 v39, v38, v39
	v_rcp_f32_e32 v38, v40
	v_fmac_f32_e32 v10, v26, v23
	v_fma_f32 v26, -v33, v32, v36
	v_mul_f32_e32 v41, v14, v37
	v_div_scale_f32 v42, s3, v4, v22, v4
	v_div_fmas_f32 v24, v24, v31, v34
	v_fmac_f32_e32 v32, v26, v35
	v_fma_f32 v26, -v13, v41, v14
	ds_swizzle_b32 v27, v3 offset:swizzle(BROADCAST,32,15)
	v_fma_f32 v31, -v40, v38, 1.0
	v_fma_f32 v9, -v29, v10, v9
	v_mul_f32_e32 v29, v42, v39
	s_mov_b32 vcc_lo, s0
	v_fmac_f32_e32 v41, v26, v37
	v_fmac_f32_e32 v38, v31, v38
	v_div_scale_f32 v26, s0, v2, v12, v2
	v_div_fmas_f32 v9, v9, v23, v10
	v_fma_f32 v23, -v25, v29, v42
	v_fma_f32 v13, -v13, v41, v14
	v_mul_f32_e32 v14, v26, v38
	v_fma_f32 v10, -v33, v32, v36
	ds_swizzle_b32 v17, v6 offset:swizzle(BROADCAST,32,15)
	v_fmac_f32_e32 v29, v23, v39
	s_mov_b32 vcc_lo, s1
	v_fma_f32 v23, -v40, v14, v26
	v_div_fmas_f32 v10, v10, v35, v32
	s_mov_b32 vcc_lo, s2
	v_add_f32_e32 v8, v8, v18
	v_div_fmas_f32 v13, v13, v37, v41
	v_fma_f32 v18, -v25, v29, v42
	v_fmac_f32_e32 v14, v23, v38
	s_mov_b32 vcc_lo, s3
	s_waitcnt lgkmcnt(1)
	v_add_f32_e32 v3, v3, v27
	v_div_fixup_f32 v13, v13, v30, v21
	v_div_fmas_f32 v18, v18, v39, v29
	v_div_fixup_f32 v9, v9, v22, v16
	v_fma_f32 v16, -v40, v14, v26
	s_mov_b32 vcc_lo, s0
	v_add_f32_e32 v5, v5, v20
	v_add_f32_e32 v3, v3, v13
	v_div_fixup_f32 v4, v18, v22, v4
	v_div_fmas_f32 v13, v16, v38, v14
	v_div_fixup_f32 v14, v24, v12, v19
	v_add_f32_e32 v5, v5, v9
	v_div_fixup_f32 v9, v10, v12, v15
	v_add_f32_e32 v3, v4, v3
	v_div_fixup_f32 v2, v13, v12, v2
	s_waitcnt lgkmcnt(0)
	v_cmp_gt_f32_e32 vcc_lo, v6, v17
	s_mov_b32 s0, exec_lo
	v_add_f32_e32 v5, v9, v5
	ds_bpermute_b32 v9, v1, v11 offset:124
	v_add_f32_e32 v2, v2, v3
	v_cndmask_b32_e32 v4, v17, v6, vcc_lo
	v_add_f32_e32 v6, v7, v28
	v_add_f32_e32 v7, v8, v14
	ds_bpermute_b32 v8, v1, v12 offset:124
	ds_bpermute_b32 v13, v1, v5 offset:124
	ds_bpermute_b32 v10, v1, v4 offset:124
	ds_bpermute_b32 v11, v1, v6 offset:124
	ds_bpermute_b32 v12, v1, v7 offset:124
	ds_bpermute_b32 v14, v1, v2 offset:124
	v_mbcnt_lo_u32_b32 v1, -1, 0
	v_cmpx_eq_u32_e32 0, v1
	s_cbranch_execz .LBB35_6
; %bb.5:
	v_lshrrev_b32_e32 v2, 5, v0
	v_mul_u32_u24_e32 v2, 28, v2
	s_waitcnt lgkmcnt(5)
	ds_write2_b32 v2, v8, v9 offset0:168 offset1:169
	s_waitcnt lgkmcnt(3)
	ds_write2_b32 v2, v10, v11 offset0:170 offset1:171
	;; [unrolled: 2-line block ×3, first 2 shown]
	s_waitcnt lgkmcnt(3)
	ds_write_b32 v2, v14 offset:696
.LBB35_6:
	s_or_b32 exec_lo, exec_lo, s0
	s_mov_b32 s4, exec_lo
	s_waitcnt lgkmcnt(0)
	s_barrier
	buffer_gl0_inv
	v_cmpx_gt_u32_e32 32, v0
	s_cbranch_execz .LBB35_8
; %bb.7:
	v_and_b32_e32 v8, 7, v1
	v_lshlrev_b32_e32 v17, 2, v1
	v_mul_u32_u24_e32 v9, 28, v8
	v_cmp_ne_u32_e32 vcc_lo, 7, v8
	v_or_b32_e32 v17, 16, v17
	ds_read2_b32 v[2:3], v9 offset0:168 offset1:169
	ds_read2_b32 v[4:5], v9 offset0:170 offset1:171
	;; [unrolled: 1-line block ×3, first 2 shown]
	v_add_co_ci_u32_e64 v10, null, 0, v1, vcc_lo
	ds_read_b32 v9, v9 offset:696
	v_cmp_gt_u32_e32 vcc_lo, 6, v8
	v_lshlrev_b32_e32 v10, 2, v10
	v_cndmask_b32_e64 v8, 0, 2, vcc_lo
	v_add_lshl_u32 v1, v8, v1, 2
	s_waitcnt lgkmcnt(3)
	ds_bpermute_b32 v13, v10, v3
	s_waitcnt lgkmcnt(3)
	ds_bpermute_b32 v12, v10, v5
	ds_bpermute_b32 v14, v10, v4
	;; [unrolled: 1-line block ×3, first 2 shown]
	s_waitcnt lgkmcnt(5)
	ds_bpermute_b32 v15, v10, v6
	ds_bpermute_b32 v16, v10, v7
	s_waitcnt lgkmcnt(6)
	ds_bpermute_b32 v8, v10, v9
	v_mul_f32_e32 v10, v2, v2
	s_waitcnt lgkmcnt(6)
	v_cmp_gt_f32_e32 vcc_lo, v3, v13
	s_waitcnt lgkmcnt(5)
	v_sub_f32_e32 v12, v12, v5
	s_waitcnt lgkmcnt(3)
	v_add_f32_e32 v18, v2, v11
	v_mul_f32_e32 v20, v6, v11
	v_cndmask_b32_e32 v3, v3, v13, vcc_lo
	v_cmp_lt_f32_e32 vcc_lo, v4, v14
	v_fma_f32 v21, -v2, v11, v10
	v_mul_f32_e32 v22, v11, v11
	s_waitcnt lgkmcnt(2)
	v_mul_f32_e32 v10, v10, v15
	v_mul_f32_e32 v24, v12, v12
	v_cndmask_b32_e32 v4, v4, v14, vcc_lo
	s_waitcnt lgkmcnt(1)
	v_add_f32_e32 v14, v7, v16
	v_mul_f32_e32 v7, v7, v11
	v_mul_f32_e32 v25, v12, v11
	v_add_f32_e32 v13, v6, v15
	v_fma_f32 v15, v2, v15, -v20
	v_fmac_f32_e32 v10, v6, v22
	v_mul_f32_e32 v6, 4.0, v12
	v_fma_f32 v7, v2, v16, -v7
	v_mul_f32_e32 v20, v12, v24
	v_div_scale_f32 v22, null, v18, v18, v25
	v_mul_f32_e32 v26, 0x40400000, v12
	v_mul_f32_e32 v28, v2, v24
	;; [unrolled: 1-line block ×4, first 2 shown]
	v_rcp_f32_e32 v12, v22
	v_mul_f32_e32 v15, v26, v15
	v_mul_f32_e32 v26, v28, v11
	;; [unrolled: 1-line block ×3, first 2 shown]
	v_sub_f32_e32 v19, v2, v11
	v_mul_f32_e32 v2, v2, v7
	v_mul_f32_e32 v23, v18, v18
	v_div_scale_f32 v30, null, v18, v18, v26
	v_mul_f32_e32 v20, v20, v11
	v_fma_f32 v33, -v22, v12, 1.0
	v_fmac_f32_e32 v21, v11, v11
	v_div_scale_f32 v27, vcc_lo, v25, v18, v25
	v_rcp_f32_e32 v7, v30
	v_mul_f32_e32 v19, v19, v20
	v_mul_f32_e32 v2, v2, v11
	v_fmac_f32_e32 v12, v33, v12
	v_div_scale_f32 v28, null, v18, v18, v15
	v_div_scale_f32 v34, null, v23, v23, v19
	v_mul_f32_e32 v2, v21, v2
	v_mul_f32_e32 v21, v27, v12
	v_fma_f32 v33, -v30, v7, 1.0
	v_rcp_f32_e32 v35, v34
	v_div_scale_f32 v31, s1, v26, v18, v26
	v_fma_f32 v38, -v22, v21, v27
	v_rcp_f32_e32 v32, v28
	v_fmac_f32_e32 v7, v33, v7
	v_mul_f32_e32 v16, v18, v23
	v_div_scale_f32 v36, s2, v19, v23, v19
	v_fmac_f32_e32 v21, v38, v12
	v_mul_f32_e32 v39, v31, v7
	v_fma_f32 v40, -v34, v35, 1.0
	v_mul_f32_e32 v24, 0x40c00000, v24
	v_div_scale_f32 v29, s0, v15, v18, v15
	v_fma_f32 v22, -v22, v21, v27
	v_fma_f32 v33, -v28, v32, 1.0
	v_fma_f32 v38, -v30, v39, v31
	v_fmac_f32_e32 v35, v40, v35
	v_div_scale_f32 v37, null, v16, v16, v2
	v_div_fmas_f32 v12, v22, v12, v21
	v_fmac_f32_e32 v32, v33, v32
	v_fmac_f32_e32 v39, v38, v7
	v_mul_f32_e32 v27, v36, v35
	v_mul_f32_e32 v10, v24, v10
	v_div_fixup_f32 v12, v12, v18, v25
	v_rcp_f32_e32 v33, v37
	v_mul_f32_e32 v21, v29, v32
	v_fma_f32 v30, -v30, v39, v31
	v_fma_f32 v31, -v34, v27, v36
	v_add_f32_e32 v5, v5, v12
	s_mov_b32 vcc_lo, s1
	v_div_scale_f32 v20, null, v23, v23, v10
	v_div_fmas_f32 v7, v30, v7, v39
	v_fmac_f32_e32 v27, v31, v35
	v_fma_f32 v25, -v28, v21, v29
	ds_bpermute_b32 v30, v1, v5
	v_div_scale_f32 v24, null, v18, v18, v6
	v_rcp_f32_e32 v11, v20
	v_fma_f32 v22, -v37, v33, 1.0
	v_fma_f32 v12, -v34, v27, v36
	v_fmac_f32_e32 v21, v25, v32
	ds_bpermute_b32 v25, v1, v18
	s_mov_b32 vcc_lo, s2
	v_div_scale_f32 v40, s3, v2, v16, v2
	v_fmac_f32_e32 v33, v22, v33
	v_div_fixup_f32 v7, v7, v18, v26
	v_rcp_f32_e32 v26, v24
	v_div_fmas_f32 v12, v12, v35, v27
	v_fma_f32 v22, -v20, v11, 1.0
	v_mul_f32_e32 v27, v40, v33
	s_mov_b32 vcc_lo, s0
	s_waitcnt lgkmcnt(2)
	v_add_f32_e32 v8, v9, v8
	v_div_fixup_f32 v12, v12, v23, v19
	v_fma_f32 v19, -v28, v21, v29
	v_fmac_f32_e32 v11, v22, v11
	v_div_scale_f32 v22, s1, v10, v23, v10
	v_fma_f32 v31, -v24, v26, 1.0
	v_fma_f32 v28, -v37, v27, v40
	v_div_fmas_f32 v19, v19, v32, v21
	s_waitcnt lgkmcnt(1)
	v_sub_f32_e32 v21, v30, v5
	v_mul_f32_e32 v29, v22, v11
	v_fmac_f32_e32 v26, v31, v26
	v_div_scale_f32 v31, s2, v6, v18, v6
	v_fmac_f32_e32 v27, v28, v33
	s_waitcnt lgkmcnt(0)
	v_add_f32_e32 v32, v18, v25
	v_mul_f32_e32 v34, v21, v25
	v_fma_f32 v28, -v20, v29, v22
	v_mul_f32_e32 v30, v31, v26
	v_fma_f32 v35, -v37, v27, v40
	s_mov_b32 vcc_lo, s3
	v_div_scale_f32 v36, null, v32, v32, v34
	v_fmac_f32_e32 v29, v28, v11
	v_fma_f32 v28, -v24, v30, v31
	v_div_fmas_f32 v27, v35, v33, v27
	v_rcp_f32_e32 v9, v36
	s_mov_b32 vcc_lo, s1
	v_fma_f32 v20, -v20, v29, v22
	v_fmac_f32_e32 v30, v28, v26
	v_div_fixup_f32 v2, v27, v16, v2
	v_add_f32_e32 v12, v14, v12
	v_div_fixup_f32 v14, v19, v18, v15
	v_div_fmas_f32 v11, v20, v11, v29
	v_fma_f32 v16, -v24, v30, v31
	v_add_f32_e32 v2, v8, v2
	v_fma_f32 v20, -v36, v9, 1.0
	v_mul_f32_e32 v8, v21, v21
	s_mov_b32 vcc_lo, s2
	v_div_fixup_f32 v10, v11, v23, v10
	v_div_fmas_f32 v16, v16, v26, v30
	v_fmac_f32_e32 v9, v20, v9
	v_div_scale_f32 v11, vcc_lo, v34, v32, v34
	v_mul_f32_e32 v15, v18, v8
	v_add_f32_e32 v2, v10, v2
	v_div_fixup_f32 v6, v16, v18, v6
	v_mul_f32_e32 v10, v11, v9
	v_add_f32_e32 v7, v13, v7
	v_mul_f32_e32 v13, v15, v25
	v_add_f32_e32 v12, v14, v12
	v_add_f32_e32 v2, v6, v2
	v_fma_f32 v6, -v36, v10, v11
	ds_bpermute_b32 v19, v1, v7
	v_div_scale_f32 v14, null, v32, v32, v13
	v_mul_f32_e32 v20, v21, v8
	v_fmac_f32_e32 v10, v6, v9
	ds_bpermute_b32 v15, v1, v3
	v_rcp_f32_e32 v6, v14
	v_mul_f32_e32 v29, 0x40400000, v21
	v_mul_f32_e32 v26, v18, v20
	v_fma_f32 v11, -v36, v10, v11
	v_mul_f32_e32 v20, v21, v20
	v_mul_f32_e32 v24, v32, v32
	ds_bpermute_b32 v22, v1, v12
	v_mul_f32_e32 v8, 0x40c00000, v8
	v_div_fmas_f32 v9, v11, v9, v10
	v_mul_f32_e32 v11, v26, v25
	v_fma_f32 v10, -v14, v6, 1.0
	v_sub_f32_e32 v26, v18, v25
	v_mul_f32_e32 v20, v18, v20
	v_div_fixup_f32 v9, v9, v32, v34
	v_mul_f32_e32 v27, v32, v24
	v_fmac_f32_e32 v6, v10, v6
	v_mul_f32_e32 v10, v26, v11
	v_mul_f32_e32 v11, v7, v25
	v_div_scale_f32 v26, vcc_lo, v13, v32, v13
	v_add_f32_e32 v5, v5, v9
	v_div_scale_f32 v28, null, v24, v24, v10
	s_waitcnt lgkmcnt(2)
	v_fma_f32 v11, v18, v19, -v11
	v_mul_f32_e32 v9, v26, v6
	s_waitcnt lgkmcnt(1)
	v_cmp_gt_f32_e64 s0, v3, v15
	v_mul_f32_e32 v20, v20, v25
	v_add_f32_e32 v33, v7, v19
	v_mul_f32_e32 v11, v29, v11
	v_fma_f32 v29, -v18, v25, v23
	v_fma_f32 v30, -v14, v9, v26
	v_cndmask_b32_e64 v3, v3, v15, s0
	v_rcp_f32_e32 v15, v28
	v_mul_f32_e32 v19, v23, v19
	v_fmac_f32_e32 v29, v25, v25
	v_fmac_f32_e32 v9, v30, v6
	v_div_scale_f32 v31, null, v32, v32, v11
	v_div_scale_f32 v23, s0, v10, v24, v10
	v_mul_f32_e32 v20, v29, v20
	v_fma_f32 v14, -v14, v9, v26
	v_mul_f32_e32 v26, v25, v25
	v_fma_f32 v30, -v28, v15, 1.0
	v_rcp_f32_e32 v34, v31
	v_div_scale_f32 v29, null, v27, v27, v20
	v_fmac_f32_e32 v19, v26, v7
	v_fmac_f32_e32 v15, v30, v15
	v_div_fmas_f32 v6, v14, v6, v9
	v_rcp_f32_e32 v35, v29
	v_mul_f32_e32 v25, v12, v25
	v_mul_f32_e32 v9, v8, v19
	;; [unrolled: 1-line block ×3, first 2 shown]
	v_fma_f32 v30, -v31, v34, 1.0
	v_mul_f32_e32 v21, 4.0, v21
	s_waitcnt lgkmcnt(0)
	v_fma_f32 v18, v18, v22, -v25
	v_div_scale_f32 v19, null, v24, v24, v9
	v_fma_f32 v26, -v28, v7, v23
	v_fma_f32 v14, -v29, v35, 1.0
	v_fmac_f32_e32 v34, v30, v34
	v_div_scale_f32 v8, s1, v11, v32, v11
	v_fmac_f32_e32 v7, v26, v15
	v_fmac_f32_e32 v35, v14, v35
	v_rcp_f32_e32 v14, v19
	v_mul_f32_e32 v18, v21, v18
	v_mul_f32_e32 v30, v8, v34
	v_div_scale_f32 v25, s2, v20, v27, v20
	v_fma_f32 v23, -v28, v7, v23
	v_div_scale_f32 v36, null, v32, v32, v18
	s_mov_b32 vcc_lo, s0
	ds_bpermute_b32 v16, v1, v4
	v_fma_f32 v26, -v19, v14, 1.0
	ds_bpermute_b32 v1, v1, v2
	v_add_f32_e32 v12, v12, v22
	v_fma_f32 v21, -v31, v30, v8
	v_mul_f32_e32 v22, v25, v35
	v_fmac_f32_e32 v14, v26, v14
	v_rcp_f32_e32 v26, v36
	v_div_fmas_f32 v7, v23, v15, v7
	ds_bpermute_b32 v15, v17, v5
	v_fmac_f32_e32 v30, v21, v34
	v_fma_f32 v21, -v29, v22, v25
	v_div_scale_f32 v28, s3, v9, v24, v9
	ds_bpermute_b32 v23, v17, v32
	v_fma_f32 v8, -v31, v30, v8
	v_fmac_f32_e32 v22, v21, v35
	v_mul_f32_e32 v21, v28, v14
	v_fma_f32 v31, -v36, v26, 1.0
	s_mov_b32 vcc_lo, s1
	v_div_fixup_f32 v7, v7, v24, v10
	v_div_fmas_f32 v30, v8, v34, v30
	v_fma_f32 v8, -v29, v22, v25
	v_fma_f32 v25, -v19, v21, v28
	v_fmac_f32_e32 v26, v31, v26
	v_div_scale_f32 v29, s0, v18, v32, v18
	s_mov_b32 vcc_lo, s2
	v_fmac_f32_e32 v21, v25, v14
	v_div_fmas_f32 v8, v8, v35, v22
	v_mul_f32_e32 v22, v29, v26
	s_waitcnt lgkmcnt(2)
	v_add_f32_e32 v1, v2, v1
	s_waitcnt lgkmcnt(1)
	v_sub_f32_e32 v2, v15, v5
	v_fma_f32 v19, -v19, v21, v28
	v_div_fixup_f32 v15, v8, v27, v20
	v_fma_f32 v20, -v36, v22, v29
	s_waitcnt lgkmcnt(0)
	v_add_f32_e32 v8, v32, v23
	v_mul_f32_e32 v25, v2, v23
	s_mov_b32 vcc_lo, s3
	v_add_f32_e32 v1, v1, v15
	v_div_fmas_f32 v14, v19, v14, v21
	v_fmac_f32_e32 v22, v20, v26
	v_div_scale_f32 v19, null, v8, v8, v25
	s_mov_b32 vcc_lo, s0
	v_div_fixup_f32 v9, v14, v24, v9
	v_fma_f32 v10, -v36, v22, v29
	v_rcp_f32_e32 v14, v19
	v_div_fixup_f32 v6, v6, v32, v13
	v_add_f32_e32 v7, v12, v7
	v_add_f32_e32 v1, v9, v1
	v_div_fmas_f32 v10, v10, v26, v22
	v_cmp_lt_f32_e32 vcc_lo, v4, v16
	v_div_fixup_f32 v11, v30, v32, v11
	v_add_f32_e32 v6, v33, v6
	v_sub_f32_e32 v29, v32, v23
	v_div_fixup_f32 v9, v10, v32, v18
	v_fma_f32 v10, -v19, v14, 1.0
	v_cndmask_b32_e32 v4, v4, v16, vcc_lo
	v_add_f32_e32 v7, v11, v7
	v_mul_f32_e32 v11, v2, v2
	v_add_f32_e32 v1, v9, v1
	v_fmac_f32_e32 v14, v10, v14
	v_div_scale_f32 v9, vcc_lo, v25, v8, v25
	ds_bpermute_b32 v10, v17, v3
	ds_bpermute_b32 v15, v17, v6
	v_mul_f32_e32 v20, v2, v11
	v_mul_f32_e32 v16, v9, v14
	;; [unrolled: 1-line block ×4, first 2 shown]
	ds_bpermute_b32 v18, v17, v7
	v_mul_f32_e32 v27, v32, v20
	v_fma_f32 v22, -v19, v16, v9
	v_mul_f32_e32 v20, v2, v20
	v_mul_f32_e32 v12, v12, v23
	;; [unrolled: 1-line block ×4, first 2 shown]
	v_fmac_f32_e32 v16, v22, v14
	v_mul_f32_e32 v20, v32, v20
	v_div_scale_f32 v26, null, v8, v8, v12
	v_mul_f32_e32 v11, 0x40c00000, v11
	v_fma_f32 v19, -v19, v16, v9
	v_mul_f32_e32 v20, v20, v23
	s_waitcnt lgkmcnt(2)
	v_cmp_gt_f32_e64 s0, v3, v10
	v_rcp_f32_e32 v22, v26
	ds_bpermute_b32 v13, v17, v4
	ds_bpermute_b32 v17, v17, v1
	v_cndmask_b32_e64 v9, v3, v10, s0
	v_div_fmas_f32 v10, v19, v14, v16
	v_mul_f32_e32 v14, v6, v23
	v_mul_f32_e32 v3, v29, v27
	;; [unrolled: 1-line block ×3, first 2 shown]
	v_mul_f32_e32 v2, 4.0, v2
	v_fma_f32 v16, -v26, v22, 1.0
	s_waitcnt lgkmcnt(3)
	v_fma_f32 v14, v32, v15, -v14
	v_div_scale_f32 v19, null, v21, v21, v3
	v_div_fixup_f32 v25, v10, v8, v25
	v_fmac_f32_e32 v22, v16, v22
	v_mul_f32_e32 v14, v27, v14
	v_fma_f32 v27, -v32, v23, v24
	v_rcp_f32_e32 v29, v19
	v_mul_f32_e32 v24, v24, v15
	v_div_scale_f32 v16, vcc_lo, v12, v8, v12
	v_fmac_f32_e32 v27, v23, v23
	v_div_scale_f32 v31, null, v8, v8, v14
	v_mul_f32_e32 v30, v16, v22
	s_waitcnt lgkmcnt(0)
	v_add_f32_e32 v1, v1, v17
	v_mul_f32_e32 v20, v27, v20
	v_mul_f32_e32 v27, v23, v23
	v_fma_f32 v33, -v19, v29, 1.0
	v_mul_f32_e32 v23, v7, v23
	v_rcp_f32_e32 v34, v31
	v_fma_f32 v10, -v26, v30, v16
	v_fmac_f32_e32 v24, v27, v6
	v_fmac_f32_e32 v29, v33, v29
	v_div_scale_f32 v33, null, v28, v28, v20
	v_fma_f32 v23, v32, v18, -v23
	v_mul_f32_e32 v11, v11, v24
	v_div_scale_f32 v27, s0, v3, v21, v3
	v_rcp_f32_e32 v36, v33
	v_mul_f32_e32 v2, v2, v23
	v_div_scale_f32 v24, null, v21, v21, v11
	v_fma_f32 v35, -v31, v34, 1.0
	v_fmac_f32_e32 v30, v10, v22
	v_mul_f32_e32 v10, v27, v29
	v_rcp_f32_e32 v38, v24
	v_div_scale_f32 v39, null, v8, v8, v2
	v_fma_f32 v37, -v33, v36, 1.0
	v_fmac_f32_e32 v34, v35, v34
	v_div_scale_f32 v35, s1, v14, v8, v14
	v_fma_f32 v16, -v26, v30, v16
	v_fmac_f32_e32 v36, v37, v36
	v_fma_f32 v26, -v19, v10, v27
	v_fma_f32 v37, -v24, v38, 1.0
	v_div_scale_f32 v23, s2, v20, v28, v20
	v_mul_f32_e32 v32, v35, v34
	v_fmac_f32_e32 v10, v26, v29
	v_fmac_f32_e32 v38, v37, v38
	v_rcp_f32_e32 v37, v39
	v_mul_f32_e32 v40, v23, v36
	v_fma_f32 v26, -v31, v32, v35
	v_div_scale_f32 v41, s3, v11, v21, v11
	v_div_fmas_f32 v16, v16, v22, v30
	v_fma_f32 v19, -v19, v10, v27
	v_fma_f32 v22, -v33, v40, v23
	v_fmac_f32_e32 v32, v26, v34
	v_mul_f32_e32 v26, v41, v38
	v_fma_f32 v27, -v39, v37, 1.0
	s_mov_b32 vcc_lo, s0
	v_fmac_f32_e32 v40, v22, v36
	v_div_fmas_f32 v10, v19, v29, v10
	v_fma_f32 v19, -v31, v32, v35
	v_fmac_f32_e32 v37, v27, v37
	v_div_scale_f32 v27, s0, v2, v8, v2
	v_fma_f32 v22, -v24, v26, v41
	v_fma_f32 v23, -v33, v40, v23
	s_mov_b32 vcc_lo, s1
	v_mul_f32_e32 v29, v27, v37
	v_div_fmas_f32 v19, v19, v34, v32
	s_mov_b32 vcc_lo, s2
	v_fmac_f32_e32 v26, v22, v38
	v_div_fmas_f32 v22, v23, v36, v40
	v_fma_f32 v23, -v39, v29, v27
	v_add_f32_e32 v6, v6, v15
	s_mov_b32 vcc_lo, s3
	v_fma_f32 v15, -v24, v26, v41
	v_div_fixup_f32 v17, v22, v28, v20
	v_fmac_f32_e32 v29, v23, v37
	v_div_fixup_f32 v3, v10, v21, v3
	v_add_f32_e32 v7, v7, v18
	v_div_fmas_f32 v15, v15, v38, v26
	s_mov_b32 vcc_lo, s0
	v_fma_f32 v10, -v39, v29, v27
	v_add_f32_e32 v1, v1, v17
	v_div_fixup_f32 v12, v16, v8, v12
	v_div_fixup_f32 v11, v15, v21, v11
	v_add_f32_e32 v3, v7, v3
	v_div_fmas_f32 v10, v10, v37, v29
	v_div_fixup_f32 v7, v19, v8, v14
	v_cmp_lt_f32_e32 vcc_lo, v4, v13
	v_add_f32_e32 v1, v11, v1
	v_add_f32_e32 v11, v5, v25
	v_div_fixup_f32 v2, v10, v8, v2
	v_add_f32_e32 v12, v6, v12
	v_cndmask_b32_e32 v10, v4, v13, vcc_lo
	v_add_f32_e32 v13, v7, v3
	v_add_f32_e32 v14, v2, v1
.LBB35_8:
	s_or_b32 exec_lo, exec_lo, s4
	s_branch .LBB35_54
.LBB35_9:
	s_mov_b32 s19, 0
                                        ; implicit-def: $vgpr7
                                        ; implicit-def: $vgpr4
	s_cbranch_execnz .LBB35_91
	s_branch .LBB35_99
.LBB35_10:
	s_mov_b32 s27, -1
.LBB35_11:
	s_mov_b32 s19, 0
                                        ; implicit-def: $vgpr7
                                        ; implicit-def: $vgpr4
	s_and_b32 vcc_lo, exec_lo, s27
	s_cbranch_vccz .LBB35_59
.LBB35_12:
	s_cmp_eq_u32 s26, 2
	s_cbranch_scc0 .LBB35_19
; %bb.13:
	s_mov_b32 s7, 0
	s_lshl_b32 s24, s6, 9
	s_mov_b32 s25, s7
	s_lshr_b64 s[2:3], s[8:9], 9
	s_lshl_b64 s[0:1], s[24:25], 2
	s_add_u32 s22, s20, s0
	s_addc_u32 s23, s21, s1
	s_cmp_lg_u64 s[2:3], s[6:7]
	s_cbranch_scc0 .LBB35_60
; %bb.14:
	s_waitcnt lgkmcnt(4)
	v_lshlrev_b32_e32 v1, 2, v0
	s_waitcnt lgkmcnt(3)
	s_clause 0x1
	global_load_dword v15, v1, s[22:23]
	global_load_dword v17, v1, s[22:23] offset:1024
	v_mov_b32_e32 v1, 2.0
	v_mov_b32_dpp v13, v1 quad_perm:[1,0,3,2] row_mask:0xf bank_mask:0xf
	v_mov_b32_e32 v1, 0
	v_mul_f32_e32 v29, v13, v13
	v_add_f32_e32 v2, 2.0, v13
	v_add_f32_e32 v27, -2.0, v13
	s_waitcnt lgkmcnt(0)
	v_fma_f32 v4, -2.0, v13, v29
	v_mul_f32_e32 v8, v2, v2
	v_mov_b32_dpp v6, v2 quad_perm:[2,3,0,1] row_mask:0xf bank_mask:0xf
	v_add_f32_e32 v30, 4.0, v4
	v_mul_f32_e32 v25, v2, v8
	v_add_f32_e32 v3, v2, v6
	v_mul_f32_e32 v22, v6, v6
	v_sub_f32_e32 v21, v6, v2
	v_mul_f32_e32 v12, v3, v3
	v_fma_f32 v28, -v2, v6, v22
	v_mov_b32_dpp v7, v3 row_ror:4 row_mask:0xf bank_mask:0xf
	v_mul_f32_e32 v20, v3, v12
	v_fmac_f32_e32 v28, v2, v2
	v_add_f32_e32 v5, v3, v7
	v_mul_f32_e32 v19, v7, v7
	v_sub_f32_e32 v26, v7, v3
	v_mul_f32_e32 v14, v5, v5
	v_fma_f32 v23, -v3, v7, v19
	v_mov_b32_dpp v11, v5 row_ror:8 row_mask:0xf bank_mask:0xf
	v_mul_f32_e32 v16, v5, v14
	v_fmac_f32_e32 v23, v3, v3
	v_add_f32_e32 v4, v5, v11
	v_mul_f32_e32 v24, v11, v11
	v_sub_f32_e32 v18, v11, v5
	v_mul_f32_e32 v10, v4, v4
	ds_swizzle_b32 v9, v4 offset:swizzle(BROADCAST,32,15)
	s_waitcnt lgkmcnt(0)
	v_mul_f32_e32 v61, v9, v9
	s_waitcnt vmcnt(0)
	v_cmp_lt_f32_e32 vcc_lo, v17, v15
	v_sub_f32_e32 v31, v17, v15
	v_cndmask_b32_e32 v32, v15, v17, vcc_lo
	v_cmp_lt_f32_e32 vcc_lo, v15, v17
	v_mul_f32_e32 v33, v31, v31
	v_mul_f32_e32 v34, 0x40400000, v31
	v_mul_f32_e32 v35, 4.0, v31
	v_mov_b32_dpp v36, v32 quad_perm:[1,0,3,2] row_mask:0xf bank_mask:0xf
	v_cndmask_b32_e32 v17, v15, v17, vcc_lo
	v_mul_f32_e32 v40, 0x40c00000, v33
	v_fmac_f32_e32 v15, 0.5, v31
	v_mul_f32_e32 v38, v31, v33
	v_cmp_lt_f32_e32 vcc_lo, v32, v36
	v_mov_b32_dpp v37, v17 quad_perm:[1,0,3,2] row_mask:0xf bank_mask:0xf
	v_mul_f32_e32 v39, 0.5, v33
	v_mov_b32_dpp v41, v15 quad_perm:[1,0,3,2] row_mask:0xf bank_mask:0xf
	v_mul_f32_e32 v31, v31, v38
	v_cndmask_b32_e32 v32, v36, v32, vcc_lo
	v_cmp_gt_f32_e32 vcc_lo, v17, v37
	v_mul_f32_e32 v36, 0, v38
	v_mov_b32_dpp v38, v39 quad_perm:[1,0,3,2] row_mask:0xf bank_mask:0xf
	v_sub_f32_e32 v15, v15, v41
	v_mul_f32_e32 v34, 0, v34
	v_cndmask_b32_e32 v17, v37, v17, vcc_lo
	v_mul_f32_e32 v37, 0, v40
	v_mov_b32_dpp v40, v32 quad_perm:[2,3,0,1] row_mask:0xf bank_mask:0xf
	v_fma_f32 v33, 0.5, v33, v38
	v_add_f32_e32 v46, v38, v38
	v_mov_b32_dpp v42, v17 quad_perm:[2,3,0,1] row_mask:0xf bank_mask:0xf
	v_mul_f32_e32 v38, 4.0, v38
	v_cmp_lt_f32_e32 vcc_lo, v32, v40
	v_fma_f32 v36, 0x3e800000, v36, 0
	v_fmamk_f32 v31, v31, 0x3e000000, v1
	v_mul_f32_e32 v43, v15, v15
	v_add_f32_e32 v44, v15, v15
	v_cndmask_b32_e32 v32, v40, v32, vcc_lo
	v_cmp_gt_f32_e32 vcc_lo, v17, v42
	v_fmac_f32_e32 v38, v39, v29
	v_fmac_f32_e32 v36, 0.5, v34
	v_fmac_f32_e32 v31, 0x3e800000, v37
	v_mov_b32_dpp v29, v32 row_ror:4 row_mask:0xf bank_mask:0xf
	v_cndmask_b32_e32 v17, v42, v17, vcc_lo
	v_mul_f32_e32 v34, v15, v43
	v_div_scale_f32 v37, null, v2, v2, v44
	v_mul_f32_e32 v42, v43, v13
	v_fma_f32 v46, v39, v13, -v46
	v_mov_b32_dpp v39, v17 row_ror:4 row_mask:0xf bank_mask:0xf
	v_cmp_lt_f32_e64 s0, v32, v29
	v_mul_f32_e32 v35, 0, v35
	v_mul_f32_e32 v45, 0x40400000, v15
	v_mul_f32_e32 v47, 4.0, v15
	v_mul_f32_e32 v15, v15, v34
	v_rcp_f32_e32 v48, v37
	v_add_f32_e32 v42, v42, v42
	v_mul_f32_e32 v34, v34, v13
	v_cndmask_b32_e64 v29, v29, v32, s0
	v_cmp_gt_f32_e64 s0, v17, v39
	v_fmac_f32_e32 v31, 0.5, v35
	v_mov_b32_dpp v35, v36 quad_perm:[1,0,3,2] row_mask:0xf bank_mask:0xf
	v_add_f32_e32 v34, v34, v34
	v_mov_b32_dpp v53, v29 row_ror:8 row_mask:0xf bank_mask:0xf
	v_cndmask_b32_e64 v32, v39, v17, s0
	v_div_scale_f32 v39, null, v2, v2, v42
	v_mul_f32_e32 v43, 0x40c00000, v43
	v_mul_f32_e32 v45, v45, v46
	v_mov_b32_dpp v17, v31 quad_perm:[1,0,3,2] row_mask:0xf bank_mask:0xf
	v_add_f32_e32 v46, v36, v35
	v_mul_f32_e32 v15, v15, v13
	v_add_f32_e32 v35, v35, v35
	v_mov_b32_dpp v54, v32 row_ror:8 row_mask:0xf bank_mask:0xf
	v_fma_f32 v55, -v37, v48, 1.0
	v_rcp_f32_e32 v56, v39
	v_mul_f32_e32 v34, v27, v34
	v_cmp_lt_f32_e64 s3, v29, v53
	v_div_scale_f32 v40, vcc_lo, v44, v2, v44
	v_mul_f32_e32 v38, v43, v38
	v_div_scale_f32 v49, null, v2, v2, v45
	v_add_f32_e32 v31, v31, v17
	v_add_f32_e32 v15, v15, v15
	v_fma_f32 v27, v36, v13, -v35
	v_cndmask_b32_e64 v17, v53, v29, s3
	v_cmp_gt_f32_e64 s3, v32, v54
	v_fmac_f32_e32 v48, v55, v48
	v_div_scale_f32 v29, null, v8, v8, v34
	v_div_scale_f32 v51, null, v8, v8, v38
	v_rcp_f32_e32 v57, v49
	v_cndmask_b32_e64 v13, v54, v32, s3
	v_mul_f32_e32 v30, v30, v15
	v_mul_f32_e32 v32, v47, v27
	v_mul_f32_e32 v15, v40, v48
	v_fma_f32 v27, -v39, v56, 1.0
	v_rcp_f32_e32 v35, v29
	v_div_scale_f32 v43, s0, v42, v2, v42
	v_rcp_f32_e32 v58, v51
	v_fma_f32 v55, -v37, v15, v40
	v_fmac_f32_e32 v56, v27, v56
	v_fma_f32 v36, -v49, v57, 1.0
	v_div_scale_f32 v50, s1, v45, v2, v45
	v_fmac_f32_e32 v15, v55, v48
	v_fma_f32 v27, -v29, v35, 1.0
	v_mul_f32_e32 v55, v43, v56
	v_fmac_f32_e32 v57, v36, v57
	v_fma_f32 v53, -v51, v58, 1.0
	v_div_scale_f32 v52, s2, v38, v8, v38
	v_fmac_f32_e32 v35, v27, v35
	v_fma_f32 v27, -v39, v55, v43
	v_div_scale_f32 v47, null, v25, v25, v30
	v_div_scale_f32 v54, null, v2, v2, v32
	v_fmac_f32_e32 v58, v53, v58
	v_mul_f32_e32 v59, v50, v57
	v_fma_f32 v37, -v37, v15, v40
	v_fmac_f32_e32 v55, v27, v56
	v_div_scale_f32 v27, s3, v34, v8, v34
	v_rcp_f32_e32 v36, v47
	v_rcp_f32_e32 v53, v54
	v_mul_f32_e32 v40, v52, v58
	v_div_fmas_f32 v37, v37, v48, v15
	v_fma_f32 v15, -v49, v59, v50
	v_fma_f32 v39, -v39, v55, v43
	v_mul_f32_e32 v43, v27, v35
	s_mov_b32 vcc_lo, s0
	v_div_fixup_f32 v37, v37, v2, v44
	v_fmac_f32_e32 v59, v15, v57
	v_fma_f32 v15, -v51, v40, v52
	v_div_fmas_f32 v39, v39, v56, v55
	v_fma_f32 v55, -v29, v43, v27
	v_fma_f32 v48, -v47, v36, 1.0
	v_div_scale_f32 v44, s0, v30, v25, v30
	v_fmac_f32_e32 v40, v15, v58
	v_fma_f32 v15, -v54, v53, 1.0
	v_fmac_f32_e32 v43, v55, v35
	v_fmac_f32_e32 v36, v48, v36
	v_div_scale_f32 v60, s4, v32, v2, v32
	v_fmac_f32_e32 v53, v15, v53
	v_fma_f32 v27, -v29, v43, v27
	s_mov_b32 vcc_lo, s3
	v_fma_f32 v49, -v49, v59, v50
	v_mul_f32_e32 v50, v44, v36
	v_add_f32_e32 v37, v37, v41
	v_div_fmas_f32 v35, v27, v35, v43
	v_mul_f32_e32 v43, v60, v53
	v_div_fixup_f32 v39, v39, v2, v42
	v_fma_f32 v29, -v47, v50, v44
	s_mov_b32 vcc_lo, s1
	v_fma_f32 v51, -v51, v40, v52
	v_fma_f32 v41, -v54, v43, v60
	v_add_f32_e32 v33, v33, v39
	v_fmac_f32_e32 v50, v29, v36
	v_div_fixup_f32 v34, v35, v8, v34
	v_fma_f32 v48, -v5, v11, v24
	v_fmac_f32_e32 v43, v41, v53
	v_mov_b32_dpp v41, v37 quad_perm:[2,3,0,1] row_mask:0xf bank_mask:0xf
	v_fma_f32 v39, -v47, v50, v44
	v_div_fmas_f32 v47, v49, v57, v59
	s_mov_b32 vcc_lo, s0
	v_fma_f32 v44, -v54, v43, v60
	v_sub_f32_e32 v37, v37, v41
	v_div_fmas_f32 v35, v39, v36, v50
	s_mov_b32 vcc_lo, s2
	v_mov_b32_dpp v36, v33 quad_perm:[2,3,0,1] row_mask:0xf bank_mask:0xf
	v_div_fixup_f32 v45, v47, v2, v45
	v_mul_f32_e32 v39, v37, v37
	v_mul_f32_e32 v49, v2, v37
	v_div_fmas_f32 v40, v51, v58, v40
	v_div_fixup_f32 v25, v35, v25, v30
	s_mov_b32 vcc_lo, s4
	v_mul_f32_e32 v30, v37, v39
	v_div_scale_f32 v35, null, v3, v3, v49
	v_mul_f32_e32 v47, v39, v6
	v_mul_f32_e32 v50, 0x40400000, v37
	v_mul_f32_e32 v52, 4.0, v37
	v_div_fmas_f32 v43, v44, v53, v43
	v_add_f32_e32 v34, v46, v34
	v_add_f32_e32 v46, v33, v36
	v_mul_f32_e32 v51, v2, v36
	v_mul_f32_e32 v36, v8, v36
	v_div_fixup_f32 v8, v40, v8, v38
	v_add_f32_e32 v25, v31, v25
	v_mul_f32_e32 v31, v37, v30
	v_rcp_f32_e32 v37, v35
	v_mul_f32_e32 v38, v2, v47
	v_mul_f32_e32 v39, 0x40c00000, v39
	v_div_fixup_f32 v32, v43, v2, v32
	v_add_f32_e32 v34, v45, v34
	v_fmac_f32_e32 v36, v22, v33
	v_add_f32_e32 v8, v8, v25
	v_div_scale_f32 v25, null, v3, v3, v38
	v_mul_f32_e32 v30, v30, v6
	v_fma_f32 v40, v33, v6, -v51
	v_mov_b32_dpp v22, v34 quad_perm:[2,3,0,1] row_mask:0xf bank_mask:0xf
	v_mul_f32_e32 v31, v31, v6
	v_mul_f32_e32 v36, v39, v36
	v_add_f32_e32 v8, v32, v8
	v_fma_f32 v32, -v35, v37, 1.0
	v_rcp_f32_e32 v39, v25
	v_div_scale_f32 v44, vcc_lo, v49, v3, v49
	v_mul_f32_e32 v30, v2, v30
	v_mul_f32_e32 v40, v50, v40
	;; [unrolled: 1-line block ×3, first 2 shown]
	v_div_scale_f32 v47, null, v12, v12, v36
	v_mul_f32_e32 v2, v2, v22
	v_fmac_f32_e32 v37, v32, v37
	v_add_f32_e32 v43, v34, v22
	v_mul_f32_e32 v21, v21, v30
	v_div_scale_f32 v30, null, v3, v3, v40
	v_mul_f32_e32 v28, v28, v31
	v_rcp_f32_e32 v31, v47
	v_fma_f32 v2, v34, v6, -v2
	v_mul_f32_e32 v6, v44, v37
	v_fma_f32 v34, -v25, v39, 1.0
	v_div_scale_f32 v33, s0, v38, v3, v38
	v_mov_b32_dpp v22, v8 quad_perm:[2,3,0,1] row_mask:0xf bank_mask:0xf
	v_div_scale_f32 v32, null, v12, v12, v21
	v_rcp_f32_e32 v53, v30
	v_mul_f32_e32 v2, v52, v2
	v_fma_f32 v52, -v35, v6, v44
	v_fmac_f32_e32 v39, v34, v39
	v_rcp_f32_e32 v54, v32
	v_add_f32_e32 v8, v8, v22
	v_div_scale_f32 v22, null, v20, v20, v28
	v_fma_f32 v58, -v47, v31, 1.0
	v_fmac_f32_e32 v6, v52, v37
	v_mul_f32_e32 v52, v33, v39
	v_fma_f32 v34, -v30, v53, 1.0
	v_rcp_f32_e32 v57, v22
	v_fmac_f32_e32 v31, v58, v31
	v_fma_f32 v35, -v35, v6, v44
	v_fma_f32 v44, -v25, v52, v33
	v_div_scale_f32 v58, null, v3, v3, v2
	v_div_scale_f32 v45, s1, v40, v3, v40
	v_div_scale_f32 v50, s2, v36, v12, v36
	v_fmac_f32_e32 v53, v34, v53
	v_fma_f32 v34, -v32, v54, 1.0
	v_fmac_f32_e32 v52, v44, v39
	v_rcp_f32_e32 v44, v58
	v_div_scale_f32 v51, s3, v21, v12, v21
	v_fmac_f32_e32 v54, v34, v54
	v_div_fmas_f32 v6, v35, v37, v6
	v_mul_f32_e32 v35, v45, v53
	v_fma_f32 v25, -v25, v52, v33
	v_fma_f32 v33, -v22, v57, 1.0
	v_mul_f32_e32 v37, v50, v31
	s_mov_b32 vcc_lo, s0
	v_div_scale_f32 v34, s4, v28, v20, v28
	v_div_fmas_f32 v25, v25, v39, v52
	v_mul_f32_e32 v39, v51, v54
	v_fma_f32 v52, -v30, v35, v45
	v_fmac_f32_e32 v57, v33, v57
	v_fma_f32 v33, -v47, v37, v50
	v_div_fixup_f32 v6, v6, v3, v49
	v_fma_f32 v49, -v58, v44, 1.0
	v_fmac_f32_e32 v35, v52, v53
	v_div_fixup_f32 v25, v25, v3, v38
	v_fmac_f32_e32 v37, v33, v31
	v_fma_f32 v33, -v32, v39, v51
	v_fmac_f32_e32 v44, v49, v44
	v_mul_f32_e32 v49, v34, v57
	v_add_f32_e32 v6, v6, v41
	v_div_scale_f32 v41, s0, v2, v3, v2
	v_fmac_f32_e32 v39, v33, v54
	v_fma_f32 v30, -v30, v35, v45
	v_fma_f32 v33, -v22, v49, v34
	;; [unrolled: 1-line block ×3, first 2 shown]
	v_mul_f32_e32 v47, v41, v44
	v_fma_f32 v32, -v32, v39, v51
	v_mov_b32_dpp v38, v6 row_ror:4 row_mask:0xf bank_mask:0xf
	v_fmac_f32_e32 v49, v33, v57
	s_mov_b32 vcc_lo, s3
	v_fma_f32 v33, -v58, v47, v41
	v_add_f32_e32 v25, v46, v25
	v_div_fmas_f32 v32, v32, v54, v39
	v_fma_f32 v22, -v22, v49, v34
	v_sub_f32_e32 v6, v6, v38
	v_fmac_f32_e32 v47, v33, v44
	s_mov_b32 vcc_lo, s1
	v_div_fixup_f32 v21, v32, v12, v21
	v_div_fmas_f32 v30, v30, v53, v35
	s_mov_b32 vcc_lo, s4
	v_fma_f32 v32, -v58, v47, v41
	v_div_fmas_f32 v22, v22, v57, v49
	v_mov_b32_dpp v33, v25 row_ror:4 row_mask:0xf bank_mask:0xf
	v_mul_f32_e32 v34, v6, v6
	v_mul_f32_e32 v35, v3, v6
	s_mov_b32 vcc_lo, s2
	v_div_fixup_f32 v30, v30, v3, v40
	v_div_fmas_f32 v31, v45, v31, v37
	s_mov_b32 vcc_lo, s0
	v_add_f32_e32 v21, v43, v21
	v_div_fixup_f32 v20, v22, v20, v28
	v_div_fmas_f32 v22, v32, v44, v47
	v_mul_f32_e32 v28, v6, v34
	v_div_scale_f32 v32, null, v5, v5, v35
	v_mul_f32_e32 v43, v34, v7
	v_mul_f32_e32 v44, v3, v33
	;; [unrolled: 1-line block ×3, first 2 shown]
	v_mul_f32_e32 v41, 4.0, v6
	v_add_f32_e32 v40, v25, v33
	v_mul_f32_e32 v33, v12, v33
	v_div_fixup_f32 v12, v31, v12, v36
	v_add_f32_e32 v21, v30, v21
	v_add_f32_e32 v8, v8, v20
	v_div_fixup_f32 v2, v22, v3, v2
	v_mul_f32_e32 v6, v6, v28
	v_rcp_f32_e32 v20, v32
	v_mul_f32_e32 v22, v3, v43
	v_mul_f32_e32 v28, v28, v7
	v_fma_f32 v30, v25, v7, -v44
	v_mul_f32_e32 v34, 0x40c00000, v34
	v_fmac_f32_e32 v33, v19, v25
	v_add_f32_e32 v8, v12, v8
	v_mov_b32_dpp v12, v21 row_ror:4 row_mask:0xf bank_mask:0xf
	v_div_scale_f32 v19, null, v5, v5, v22
	v_mul_f32_e32 v28, v3, v28
	v_mul_f32_e32 v30, v39, v30
	;; [unrolled: 1-line block ×4, first 2 shown]
	v_add_f32_e32 v2, v2, v8
	v_fma_f32 v8, -v32, v20, 1.0
	v_rcp_f32_e32 v33, v19
	v_mul_f32_e32 v26, v26, v28
	v_div_scale_f32 v28, null, v5, v5, v30
	v_mul_f32_e32 v6, v3, v6
	v_mul_f32_e32 v3, v3, v12
	v_div_scale_f32 v37, vcc_lo, v35, v5, v35
	v_add_f32_e32 v34, v21, v12
	v_div_scale_f32 v39, null, v14, v14, v31
	v_mov_b32_dpp v12, v2 row_ror:4 row_mask:0xf bank_mask:0xf
	v_fmac_f32_e32 v20, v8, v20
	v_div_scale_f32 v8, null, v14, v14, v26
	v_rcp_f32_e32 v45, v28
	v_mul_f32_e32 v6, v23, v6
	v_fma_f32 v3, v21, v7, -v3
	v_rcp_f32_e32 v23, v39
	v_mul_f32_e32 v7, v37, v20
	v_fma_f32 v21, -v19, v33, 1.0
	v_rcp_f32_e32 v46, v8
	v_add_f32_e32 v2, v2, v12
	v_div_scale_f32 v12, null, v16, v16, v6
	v_mul_f32_e32 v3, v41, v3
	v_div_scale_f32 v25, s0, v22, v5, v22
	v_fma_f32 v41, -v32, v7, v37
	v_fmac_f32_e32 v33, v21, v33
	v_fma_f32 v21, -v28, v45, 1.0
	v_rcp_f32_e32 v49, v12
	v_div_scale_f32 v53, null, v5, v5, v3
	v_div_scale_f32 v36, s1, v30, v5, v30
	v_fma_f32 v51, -v39, v23, 1.0
	v_fmac_f32_e32 v7, v41, v20
	v_mul_f32_e32 v41, v25, v33
	v_fma_f32 v57, -v8, v46, 1.0
	v_fmac_f32_e32 v45, v21, v45
	v_rcp_f32_e32 v21, v53
	v_div_scale_f32 v44, s3, v26, v14, v26
	v_fmac_f32_e32 v23, v51, v23
	v_fma_f32 v32, -v32, v7, v37
	v_fma_f32 v37, -v19, v41, v25
	v_fmac_f32_e32 v46, v57, v46
	v_mul_f32_e32 v51, v36, v45
	v_fma_f32 v57, -v12, v49, 1.0
	v_div_scale_f32 v47, s4, v6, v16, v6
	v_div_fmas_f32 v7, v32, v20, v7
	v_fmac_f32_e32 v41, v37, v33
	v_mul_f32_e32 v20, v44, v46
	v_fma_f32 v32, -v28, v51, v36
	v_fmac_f32_e32 v49, v57, v49
	v_fma_f32 v57, -v53, v21, 1.0
	v_div_scale_f32 v43, s2, v31, v14, v31
	v_div_scale_f32 v54, s5, v3, v5, v3
	v_div_fixup_f32 v7, v7, v5, v35
	v_fma_f32 v19, -v19, v41, v25
	v_fma_f32 v25, -v8, v20, v44
	v_fmac_f32_e32 v51, v32, v45
	v_mul_f32_e32 v32, v47, v49
	v_fmac_f32_e32 v21, v57, v21
	v_mul_f32_e32 v58, v43, v23
	s_mov_b32 vcc_lo, s0
	v_add_f32_e32 v7, v7, v38
	v_div_fmas_f32 v19, v19, v33, v41
	v_fmac_f32_e32 v20, v25, v46
	v_fma_f32 v25, -v28, v51, v36
	v_fma_f32 v28, -v12, v32, v47
	v_mul_f32_e32 v33, v54, v21
	v_fma_f32 v37, -v39, v58, v43
	v_div_fixup_f32 v19, v19, v5, v22
	v_fma_f32 v8, -v8, v20, v44
	v_fmac_f32_e32 v32, v28, v49
	v_fma_f32 v22, -v53, v33, v54
	v_mov_b32_dpp v28, v7 row_ror:8 row_mask:0xf bank_mask:0xf
	v_fmac_f32_e32 v58, v37, v23
	s_mov_b32 vcc_lo, s3
	v_add_f32_e32 v19, v40, v19
	v_div_fmas_f32 v8, v8, v46, v20
	v_fma_f32 v12, -v12, v32, v47
	v_fmac_f32_e32 v33, v22, v21
	v_sub_f32_e32 v7, v7, v28
	s_mov_b32 vcc_lo, s1
	v_fma_f32 v35, -v39, v58, v43
	v_div_fmas_f32 v20, v25, v45, v51
	s_mov_b32 vcc_lo, s4
	v_div_fixup_f32 v8, v8, v14, v26
	v_div_fmas_f32 v12, v12, v49, v32
	v_fma_f32 v22, -v53, v33, v54
	v_mov_b32_dpp v25, v19 row_ror:8 row_mask:0xf bank_mask:0xf
	v_mul_f32_e32 v26, v7, v7
	v_mul_f32_e32 v32, v5, v7
	s_mov_b32 vcc_lo, s2
	v_div_fixup_f32 v20, v20, v5, v30
	v_div_fmas_f32 v23, v35, v23, v58
	s_mov_b32 vcc_lo, s5
	v_add_f32_e32 v8, v34, v8
	v_div_fixup_f32 v6, v12, v16, v6
	v_div_fmas_f32 v12, v22, v21, v33
	v_mul_f32_e32 v16, v7, v26
	v_div_scale_f32 v21, null, v4, v4, v32
	v_mul_f32_e32 v33, v26, v11
	v_mul_f32_e32 v34, v5, v25
	;; [unrolled: 1-line block ×3, first 2 shown]
	v_mul_f32_e32 v37, 4.0, v7
	v_add_f32_e32 v30, v19, v25
	v_mul_f32_e32 v25, v14, v25
	v_div_fixup_f32 v14, v23, v14, v31
	v_add_f32_e32 v8, v20, v8
	v_add_f32_e32 v2, v2, v6
	v_div_fixup_f32 v3, v12, v5, v3
	v_mul_f32_e32 v6, v7, v16
	v_rcp_f32_e32 v7, v21
	v_mul_f32_e32 v12, v5, v33
	v_mul_f32_e32 v16, v16, v11
	v_fma_f32 v20, v19, v11, -v34
	v_mul_f32_e32 v26, 0x40c00000, v26
	v_fmac_f32_e32 v25, v24, v19
	v_add_f32_e32 v2, v14, v2
	v_div_scale_f32 v19, null, v4, v4, v12
	v_mul_f32_e32 v16, v5, v16
	v_mul_f32_e32 v20, v36, v20
	;; [unrolled: 1-line block ×3, first 2 shown]
	v_fmac_f32_e32 v48, v5, v5
	v_mov_b32_dpp v14, v8 row_ror:8 row_mask:0xf bank_mask:0xf
	v_mul_f32_e32 v24, v26, v25
	v_add_f32_e32 v2, v3, v2
	v_fma_f32 v3, -v21, v7, 1.0
	v_rcp_f32_e32 v25, v19
	v_mul_f32_e32 v16, v18, v16
	v_div_scale_f32 v18, null, v4, v4, v20
	v_mul_f32_e32 v6, v5, v6
	v_mul_f32_e32 v56, v4, v10
	v_div_scale_f32 v22, vcc_lo, v32, v4, v32
	v_add_f32_e32 v26, v8, v14
	v_div_scale_f32 v33, null, v10, v10, v24
	v_mul_f32_e32 v5, v5, v14
	v_mov_b32_dpp v14, v2 row_ror:8 row_mask:0xf bank_mask:0xf
	v_fmac_f32_e32 v7, v3, v7
	v_div_scale_f32 v3, null, v10, v10, v16
	v_rcp_f32_e32 v36, v18
	v_mul_f32_e32 v6, v48, v6
	v_rcp_f32_e32 v38, v33
	v_fma_f32 v5, v8, v11, -v5
	v_mul_f32_e32 v8, v22, v7
	v_fma_f32 v11, -v19, v25, 1.0
	v_rcp_f32_e32 v39, v3
	v_add_f32_e32 v2, v2, v14
	v_div_scale_f32 v14, null, v56, v56, v6
	v_div_scale_f32 v23, s0, v12, v4, v12
	v_mul_f32_e32 v5, v37, v5
	v_fma_f32 v37, -v21, v8, v22
	v_fmac_f32_e32 v25, v11, v25
	v_fma_f32 v11, -v18, v36, 1.0
	v_rcp_f32_e32 v41, v14
	v_div_scale_f32 v31, s1, v20, v4, v20
	v_fma_f32 v43, -v33, v38, 1.0
	v_div_scale_f32 v44, null, v4, v4, v5
	v_fmac_f32_e32 v8, v37, v7
	v_mul_f32_e32 v37, v23, v25
	v_fma_f32 v46, -v3, v39, 1.0
	v_fmac_f32_e32 v36, v11, v36
	v_div_scale_f32 v34, s2, v24, v10, v24
	v_div_scale_f32 v35, s3, v16, v10, v16
	v_fmac_f32_e32 v38, v43, v38
	v_rcp_f32_e32 v11, v44
	v_fma_f32 v21, -v21, v8, v22
	v_fma_f32 v22, -v19, v37, v23
	v_fmac_f32_e32 v39, v46, v39
	v_mul_f32_e32 v43, v31, v36
	v_fma_f32 v46, -v14, v41, 1.0
	v_div_scale_f32 v40, s4, v6, v56, v6
	v_mul_f32_e32 v47, v34, v38
	v_div_fmas_f32 v7, v21, v7, v8
	v_fmac_f32_e32 v37, v22, v25
	v_mul_f32_e32 v8, v35, v39
	v_fma_f32 v21, -v18, v43, v31
	v_fmac_f32_e32 v41, v46, v41
	v_fma_f32 v22, -v33, v47, v34
	v_fma_f32 v46, -v44, v11, 1.0
	v_div_fixup_f32 v7, v7, v4, v32
	v_fma_f32 v19, -v19, v37, v23
	v_fma_f32 v23, -v3, v8, v35
	v_fmac_f32_e32 v43, v21, v36
	v_mul_f32_e32 v21, v40, v41
	v_div_scale_f32 v45, s5, v5, v4, v5
	v_fmac_f32_e32 v47, v22, v38
	v_fmac_f32_e32 v11, v46, v11
	v_add_f32_e32 v7, v7, v28
	v_fmac_f32_e32 v8, v23, v39
	v_fma_f32 v22, -v14, v21, v40
	s_mov_b32 vcc_lo, s0
	v_mul_f32_e32 v23, v45, v11
	v_div_fmas_f32 v19, v19, v25, v37
	v_fma_f32 v3, -v3, v8, v35
	v_fmac_f32_e32 v21, v22, v41
	ds_swizzle_b32 v22, v7 offset:swizzle(BROADCAST,32,15)
	v_fma_f32 v18, -v18, v43, v31
	s_mov_b32 vcc_lo, s3
	ds_swizzle_b32 v52, v17 offset:swizzle(BROADCAST,32,15)
	v_div_fixup_f32 v12, v19, v4, v12
	v_fma_f32 v19, -v44, v23, v45
	v_div_fmas_f32 v3, v3, v39, v8
	v_fma_f32 v8, -v14, v21, v40
	s_mov_b32 vcc_lo, s1
	v_fma_f32 v25, -v33, v47, v34
	v_div_fmas_f32 v14, v18, v36, v43
	s_mov_b32 vcc_lo, s4
	v_add_f32_e32 v12, v30, v12
	v_fmac_f32_e32 v23, v19, v11
	v_div_fmas_f32 v8, v8, v41, v21
	s_mov_b32 vcc_lo, s2
	v_div_fixup_f32 v3, v3, v10, v16
	ds_swizzle_b32 v18, v12 offset:swizzle(BROADCAST,32,15)
	v_fma_f32 v16, -v44, v23, v45
	v_div_fmas_f32 v19, v25, v38, v47
	v_div_fixup_f32 v6, v8, v56, v6
	s_mov_b32 vcc_lo, s5
	v_div_fixup_f32 v14, v14, v4, v20
	v_add_f32_e32 v3, v26, v3
	v_div_fmas_f32 v8, v16, v11, v23
	v_div_fixup_f32 v11, v19, v10, v24
	v_add_f32_e32 v2, v2, v6
	s_waitcnt lgkmcnt(2)
	v_sub_f32_e32 v6, v7, v22
	v_add_f32_e32 v15, v4, v9
	v_add_f32_e32 v3, v14, v3
	s_waitcnt lgkmcnt(1)
	v_cmp_lt_f32_e32 vcc_lo, v17, v52
	v_div_fixup_f32 v5, v8, v4, v5
	v_add_f32_e32 v2, v11, v2
	v_mul_f32_e32 v8, v6, v6
	v_mul_f32_e32 v14, v4, v6
	v_cndmask_b32_e32 v7, v52, v17, vcc_lo
	v_sub_f32_e32 v55, v9, v4
	v_add_f32_e32 v2, v5, v2
	v_mul_f32_e32 v5, v6, v8
	v_div_scale_f32 v17, null, v15, v15, v14
	v_mul_f32_e32 v20, v8, v9
	s_waitcnt lgkmcnt(0)
	v_mul_f32_e32 v21, v4, v18
	v_mul_f32_e32 v10, v10, v18
	;; [unrolled: 1-line block ×3, first 2 shown]
	v_rcp_f32_e32 v25, v17
	v_mul_f32_e32 v20, v4, v20
	v_mul_f32_e32 v5, v5, v9
	;; [unrolled: 1-line block ×4, first 2 shown]
	v_fma_f32 v21, v12, v9, -v21
	v_fmac_f32_e32 v10, v61, v12
	v_div_scale_f32 v26, null, v15, v15, v20
	v_mul_f32_e32 v5, v4, v5
	v_mul_f32_e32 v27, v15, v15
	v_fma_f32 v42, -v4, v9, v61
	ds_swizzle_b32 v11, v3 offset:swizzle(BROADCAST,32,15)
	v_mul_f32_e32 v16, v16, v21
	v_mul_f32_e32 v21, v24, v9
	;; [unrolled: 1-line block ×3, first 2 shown]
	v_fma_f32 v10, -v17, v25, 1.0
	v_rcp_f32_e32 v24, v26
	v_mul_f32_e32 v5, v55, v5
	v_fmac_f32_e32 v42, v4, v4
	v_div_scale_f32 v19, vcc_lo, v14, v15, v14
	v_mul_f32_e32 v21, v4, v21
	v_fmac_f32_e32 v25, v10, v25
	v_div_scale_f32 v10, null, v27, v27, v5
	v_mul_f32_e32 v29, v15, v27
	v_fma_f32 v34, -v26, v24, 1.0
	v_mul_f32_e32 v33, v19, v25
	v_rcp_f32_e32 v36, v10
	v_mul_f32_e32 v21, v42, v21
	v_div_scale_f32 v28, s0, v20, v15, v20
	v_div_scale_f32 v30, null, v15, v15, v16
	v_fma_f32 v37, -v17, v33, v19
	v_fmac_f32_e32 v24, v34, v24
	v_div_scale_f32 v38, null, v29, v29, v21
	v_div_scale_f32 v32, null, v27, v27, v8
	v_rcp_f32_e32 v35, v30
	v_fmac_f32_e32 v33, v37, v25
	v_mul_f32_e32 v37, v28, v24
	v_fma_f32 v39, -v10, v36, 1.0
	v_rcp_f32_e32 v41, v38
	s_waitcnt lgkmcnt(0)
	v_mul_f32_e32 v4, v4, v11
	v_fma_f32 v17, -v17, v33, v19
	v_fma_f32 v19, -v26, v37, v28
	v_fmac_f32_e32 v36, v39, v36
	v_rcp_f32_e32 v39, v32
	v_mul_f32_e32 v6, 4.0, v6
	v_fma_f32 v4, v3, v9, -v4
	v_div_scale_f32 v34, s2, v5, v27, v5
	v_fma_f32 v40, -v30, v35, 1.0
	v_div_fmas_f32 v17, v17, v25, v33
	v_fmac_f32_e32 v37, v19, v24
	v_fma_f32 v25, -v38, v41, 1.0
	v_mul_f32_e32 v4, v6, v4
	v_div_scale_f32 v31, s1, v16, v15, v16
	v_fmac_f32_e32 v35, v40, v35
	v_mul_f32_e32 v19, v34, v36
	v_fma_f32 v9, -v26, v37, v28
	v_fmac_f32_e32 v41, v25, v41
	v_fma_f32 v25, -v32, v39, 1.0
	v_div_scale_f32 v28, null, v15, v15, v4
	v_div_fixup_f32 v14, v17, v15, v14
	v_fma_f32 v17, -v10, v19, v34
	v_mul_f32_e32 v26, v31, v35
	v_fmac_f32_e32 v39, v25, v39
	v_rcp_f32_e32 v25, v28
	v_div_scale_f32 v6, s3, v21, v29, v21
	v_fmac_f32_e32 v19, v17, v36
	v_fma_f32 v17, -v30, v26, v31
	v_div_scale_f32 v40, s4, v8, v27, v8
	v_mul_f32_e32 v33, v6, v41
	v_fma_f32 v10, -v10, v19, v34
	v_fmac_f32_e32 v26, v17, v35
	v_fma_f32 v34, -v28, v25, 1.0
	s_mov_b32 vcc_lo, s0
	ds_swizzle_b32 v23, v2 offset:swizzle(BROADCAST,32,15)
	v_div_fmas_f32 v9, v9, v24, v37
	s_mov_b32 vcc_lo, s2
	v_fma_f32 v17, -v38, v33, v6
	v_mul_f32_e32 v24, v40, v39
	v_div_fmas_f32 v10, v10, v36, v19
	v_fma_f32 v19, -v30, v26, v31
	v_fmac_f32_e32 v25, v34, v25
	v_div_scale_f32 v30, s0, v4, v15, v4
	s_mov_b32 vcc_lo, s1
	v_fmac_f32_e32 v33, v17, v41
	v_fma_f32 v17, -v32, v24, v40
	v_div_fmas_f32 v19, v19, v35, v26
	v_mul_f32_e32 v26, v30, v25
	ds_swizzle_b32 v50, v13 offset:swizzle(BROADCAST,32,15)
	v_fma_f32 v6, -v38, v33, v6
	v_fmac_f32_e32 v24, v17, v39
	s_mov_b32 vcc_lo, s3
	v_fma_f32 v17, -v28, v26, v30
	v_add_f32_e32 v12, v12, v18
	v_div_fmas_f32 v6, v6, v41, v33
	v_fma_f32 v18, -v32, v24, v40
	s_mov_b32 vcc_lo, s4
	v_fmac_f32_e32 v26, v17, v25
	s_waitcnt lgkmcnt(1)
	v_add_f32_e32 v2, v2, v23
	v_div_fixup_f32 v6, v6, v29, v21
	v_div_fmas_f32 v17, v18, v39, v24
	v_div_fixup_f32 v5, v10, v27, v5
	v_fma_f32 v10, -v28, v26, v30
	s_mov_b32 vcc_lo, s0
	v_add_f32_e32 v3, v3, v11
	v_add_f32_e32 v2, v2, v6
	v_div_fixup_f32 v6, v17, v27, v8
	v_div_fmas_f32 v8, v10, v25, v26
	v_div_fixup_f32 v9, v9, v15, v20
	v_add_f32_e32 v3, v3, v5
	v_div_fixup_f32 v5, v19, v15, v16
	v_add_f32_e32 v2, v6, v2
	v_div_fixup_f32 v4, v8, v15, v4
	s_waitcnt lgkmcnt(0)
	v_cmp_gt_f32_e32 vcc_lo, v13, v50
	v_add_f32_e32 v11, v14, v22
	v_add_f32_e32 v12, v12, v9
	;; [unrolled: 1-line block ×4, first 2 shown]
	v_cndmask_b32_e32 v6, v50, v13, vcc_lo
	ds_bpermute_b32 v8, v1, v15 offset:124
	ds_bpermute_b32 v9, v1, v7 offset:124
	;; [unrolled: 1-line block ×7, first 2 shown]
	v_mbcnt_lo_u32_b32 v1, -1, 0
	s_mov_b32 s0, exec_lo
	v_cmpx_eq_u32_e32 0, v1
	s_cbranch_execz .LBB35_16
; %bb.15:
	v_lshrrev_b32_e32 v2, 5, v0
	v_mul_u32_u24_e32 v2, 28, v2
	s_waitcnt lgkmcnt(5)
	ds_write2_b32 v2, v8, v9 offset0:112 offset1:113
	s_waitcnt lgkmcnt(3)
	ds_write2_b32 v2, v10, v11 offset0:114 offset1:115
	s_waitcnt lgkmcnt(3)
	ds_write2_b32 v2, v12, v13 offset0:116 offset1:117
	s_waitcnt lgkmcnt(3)
	ds_write_b32 v2, v14 offset:472
.LBB35_16:
	s_or_b32 exec_lo, exec_lo, s0
	s_mov_b32 s4, exec_lo
	s_waitcnt lgkmcnt(0)
	s_barrier
	buffer_gl0_inv
	v_cmpx_gt_u32_e32 32, v0
	s_cbranch_execz .LBB35_18
; %bb.17:
	v_and_b32_e32 v8, 7, v1
	v_lshlrev_b32_e32 v17, 2, v1
	v_mul_u32_u24_e32 v9, 28, v8
	v_cmp_ne_u32_e32 vcc_lo, 7, v8
	v_or_b32_e32 v17, 16, v17
	ds_read2_b32 v[2:3], v9 offset0:112 offset1:113
	ds_read2_b32 v[4:5], v9 offset0:114 offset1:115
	;; [unrolled: 1-line block ×3, first 2 shown]
	v_add_co_ci_u32_e64 v10, null, 0, v1, vcc_lo
	ds_read_b32 v9, v9 offset:472
	v_cmp_gt_u32_e32 vcc_lo, 6, v8
	v_lshlrev_b32_e32 v10, 2, v10
	v_cndmask_b32_e64 v8, 0, 2, vcc_lo
	v_add_lshl_u32 v1, v8, v1, 2
	s_waitcnt lgkmcnt(3)
	ds_bpermute_b32 v13, v10, v3
	s_waitcnt lgkmcnt(3)
	ds_bpermute_b32 v12, v10, v5
	ds_bpermute_b32 v14, v10, v4
	ds_bpermute_b32 v11, v10, v2
	s_waitcnt lgkmcnt(5)
	ds_bpermute_b32 v15, v10, v6
	ds_bpermute_b32 v16, v10, v7
	s_waitcnt lgkmcnt(6)
	ds_bpermute_b32 v8, v10, v9
	v_mul_f32_e32 v10, v2, v2
	s_waitcnt lgkmcnt(6)
	v_cmp_gt_f32_e32 vcc_lo, v3, v13
	s_waitcnt lgkmcnt(5)
	v_sub_f32_e32 v12, v12, v5
	s_waitcnt lgkmcnt(3)
	v_add_f32_e32 v18, v2, v11
	v_mul_f32_e32 v20, v6, v11
	v_cndmask_b32_e32 v3, v3, v13, vcc_lo
	v_cmp_lt_f32_e32 vcc_lo, v4, v14
	v_fma_f32 v21, -v2, v11, v10
	v_mul_f32_e32 v22, v11, v11
	s_waitcnt lgkmcnt(2)
	v_mul_f32_e32 v10, v10, v15
	v_mul_f32_e32 v24, v12, v12
	v_cndmask_b32_e32 v4, v4, v14, vcc_lo
	s_waitcnt lgkmcnt(1)
	v_add_f32_e32 v14, v7, v16
	v_mul_f32_e32 v7, v7, v11
	v_mul_f32_e32 v25, v12, v11
	v_add_f32_e32 v13, v6, v15
	v_fma_f32 v15, v2, v15, -v20
	v_fmac_f32_e32 v10, v6, v22
	v_mul_f32_e32 v6, 4.0, v12
	v_fma_f32 v7, v2, v16, -v7
	v_mul_f32_e32 v20, v12, v24
	v_div_scale_f32 v22, null, v18, v18, v25
	v_mul_f32_e32 v26, 0x40400000, v12
	v_mul_f32_e32 v28, v2, v24
	;; [unrolled: 1-line block ×4, first 2 shown]
	v_rcp_f32_e32 v12, v22
	v_mul_f32_e32 v15, v26, v15
	v_mul_f32_e32 v26, v28, v11
	;; [unrolled: 1-line block ×3, first 2 shown]
	v_sub_f32_e32 v19, v2, v11
	v_mul_f32_e32 v2, v2, v7
	v_mul_f32_e32 v23, v18, v18
	v_div_scale_f32 v30, null, v18, v18, v26
	v_mul_f32_e32 v20, v20, v11
	v_fma_f32 v33, -v22, v12, 1.0
	v_fmac_f32_e32 v21, v11, v11
	v_div_scale_f32 v27, vcc_lo, v25, v18, v25
	v_rcp_f32_e32 v7, v30
	v_mul_f32_e32 v19, v19, v20
	v_mul_f32_e32 v2, v2, v11
	v_fmac_f32_e32 v12, v33, v12
	v_div_scale_f32 v28, null, v18, v18, v15
	v_div_scale_f32 v34, null, v23, v23, v19
	v_mul_f32_e32 v2, v21, v2
	v_mul_f32_e32 v21, v27, v12
	v_fma_f32 v33, -v30, v7, 1.0
	v_rcp_f32_e32 v35, v34
	v_div_scale_f32 v31, s1, v26, v18, v26
	v_fma_f32 v38, -v22, v21, v27
	v_rcp_f32_e32 v32, v28
	v_fmac_f32_e32 v7, v33, v7
	v_mul_f32_e32 v16, v18, v23
	v_div_scale_f32 v36, s2, v19, v23, v19
	v_fmac_f32_e32 v21, v38, v12
	v_mul_f32_e32 v39, v31, v7
	v_fma_f32 v40, -v34, v35, 1.0
	v_mul_f32_e32 v24, 0x40c00000, v24
	v_div_scale_f32 v29, s0, v15, v18, v15
	v_fma_f32 v22, -v22, v21, v27
	v_fma_f32 v33, -v28, v32, 1.0
	v_fma_f32 v38, -v30, v39, v31
	v_fmac_f32_e32 v35, v40, v35
	v_div_scale_f32 v37, null, v16, v16, v2
	v_div_fmas_f32 v12, v22, v12, v21
	v_fmac_f32_e32 v32, v33, v32
	v_fmac_f32_e32 v39, v38, v7
	v_mul_f32_e32 v27, v36, v35
	v_mul_f32_e32 v10, v24, v10
	v_div_fixup_f32 v12, v12, v18, v25
	v_rcp_f32_e32 v33, v37
	v_mul_f32_e32 v21, v29, v32
	v_fma_f32 v30, -v30, v39, v31
	v_fma_f32 v31, -v34, v27, v36
	v_add_f32_e32 v5, v5, v12
	s_mov_b32 vcc_lo, s1
	v_div_scale_f32 v20, null, v23, v23, v10
	v_div_fmas_f32 v7, v30, v7, v39
	v_fmac_f32_e32 v27, v31, v35
	v_fma_f32 v25, -v28, v21, v29
	ds_bpermute_b32 v30, v1, v5
	v_div_scale_f32 v24, null, v18, v18, v6
	v_rcp_f32_e32 v11, v20
	v_fma_f32 v22, -v37, v33, 1.0
	v_fma_f32 v12, -v34, v27, v36
	v_fmac_f32_e32 v21, v25, v32
	ds_bpermute_b32 v25, v1, v18
	s_mov_b32 vcc_lo, s2
	v_div_scale_f32 v40, s3, v2, v16, v2
	v_fmac_f32_e32 v33, v22, v33
	v_div_fixup_f32 v7, v7, v18, v26
	v_rcp_f32_e32 v26, v24
	v_div_fmas_f32 v12, v12, v35, v27
	v_fma_f32 v22, -v20, v11, 1.0
	v_mul_f32_e32 v27, v40, v33
	s_mov_b32 vcc_lo, s0
	s_waitcnt lgkmcnt(2)
	v_add_f32_e32 v8, v9, v8
	v_div_fixup_f32 v12, v12, v23, v19
	v_fma_f32 v19, -v28, v21, v29
	v_fmac_f32_e32 v11, v22, v11
	v_div_scale_f32 v22, s1, v10, v23, v10
	v_fma_f32 v31, -v24, v26, 1.0
	v_fma_f32 v28, -v37, v27, v40
	v_div_fmas_f32 v19, v19, v32, v21
	s_waitcnt lgkmcnt(1)
	v_sub_f32_e32 v21, v30, v5
	v_mul_f32_e32 v29, v22, v11
	v_fmac_f32_e32 v26, v31, v26
	v_div_scale_f32 v31, s2, v6, v18, v6
	v_fmac_f32_e32 v27, v28, v33
	s_waitcnt lgkmcnt(0)
	v_add_f32_e32 v32, v18, v25
	v_mul_f32_e32 v34, v21, v25
	v_fma_f32 v28, -v20, v29, v22
	v_mul_f32_e32 v30, v31, v26
	v_fma_f32 v35, -v37, v27, v40
	s_mov_b32 vcc_lo, s3
	v_div_scale_f32 v36, null, v32, v32, v34
	v_fmac_f32_e32 v29, v28, v11
	v_fma_f32 v28, -v24, v30, v31
	v_div_fmas_f32 v27, v35, v33, v27
	v_rcp_f32_e32 v9, v36
	s_mov_b32 vcc_lo, s1
	v_fma_f32 v20, -v20, v29, v22
	v_fmac_f32_e32 v30, v28, v26
	v_div_fixup_f32 v2, v27, v16, v2
	v_add_f32_e32 v12, v14, v12
	v_div_fixup_f32 v14, v19, v18, v15
	v_div_fmas_f32 v11, v20, v11, v29
	v_fma_f32 v16, -v24, v30, v31
	v_add_f32_e32 v2, v8, v2
	v_fma_f32 v20, -v36, v9, 1.0
	v_mul_f32_e32 v8, v21, v21
	s_mov_b32 vcc_lo, s2
	v_div_fixup_f32 v10, v11, v23, v10
	v_div_fmas_f32 v16, v16, v26, v30
	v_fmac_f32_e32 v9, v20, v9
	v_div_scale_f32 v11, vcc_lo, v34, v32, v34
	v_mul_f32_e32 v15, v18, v8
	v_add_f32_e32 v2, v10, v2
	v_div_fixup_f32 v6, v16, v18, v6
	v_mul_f32_e32 v10, v11, v9
	v_add_f32_e32 v7, v13, v7
	v_mul_f32_e32 v13, v15, v25
	v_add_f32_e32 v12, v14, v12
	v_add_f32_e32 v2, v6, v2
	v_fma_f32 v6, -v36, v10, v11
	ds_bpermute_b32 v19, v1, v7
	v_div_scale_f32 v14, null, v32, v32, v13
	v_mul_f32_e32 v20, v21, v8
	v_fmac_f32_e32 v10, v6, v9
	ds_bpermute_b32 v15, v1, v3
	v_rcp_f32_e32 v6, v14
	v_mul_f32_e32 v29, 0x40400000, v21
	v_mul_f32_e32 v26, v18, v20
	v_fma_f32 v11, -v36, v10, v11
	v_mul_f32_e32 v20, v21, v20
	v_mul_f32_e32 v24, v32, v32
	ds_bpermute_b32 v22, v1, v12
	v_mul_f32_e32 v8, 0x40c00000, v8
	v_div_fmas_f32 v9, v11, v9, v10
	v_mul_f32_e32 v11, v26, v25
	v_fma_f32 v10, -v14, v6, 1.0
	v_sub_f32_e32 v26, v18, v25
	v_mul_f32_e32 v20, v18, v20
	v_div_fixup_f32 v9, v9, v32, v34
	v_mul_f32_e32 v27, v32, v24
	v_fmac_f32_e32 v6, v10, v6
	v_mul_f32_e32 v10, v26, v11
	v_mul_f32_e32 v11, v7, v25
	v_div_scale_f32 v26, vcc_lo, v13, v32, v13
	v_add_f32_e32 v5, v5, v9
	v_div_scale_f32 v28, null, v24, v24, v10
	s_waitcnt lgkmcnt(2)
	v_fma_f32 v11, v18, v19, -v11
	v_mul_f32_e32 v9, v26, v6
	s_waitcnt lgkmcnt(1)
	v_cmp_gt_f32_e64 s0, v3, v15
	v_mul_f32_e32 v20, v20, v25
	v_add_f32_e32 v33, v7, v19
	v_mul_f32_e32 v11, v29, v11
	v_fma_f32 v29, -v18, v25, v23
	v_fma_f32 v30, -v14, v9, v26
	v_cndmask_b32_e64 v3, v3, v15, s0
	v_rcp_f32_e32 v15, v28
	v_mul_f32_e32 v19, v23, v19
	v_fmac_f32_e32 v29, v25, v25
	v_fmac_f32_e32 v9, v30, v6
	v_div_scale_f32 v31, null, v32, v32, v11
	v_div_scale_f32 v23, s0, v10, v24, v10
	v_mul_f32_e32 v20, v29, v20
	v_fma_f32 v14, -v14, v9, v26
	v_mul_f32_e32 v26, v25, v25
	v_fma_f32 v30, -v28, v15, 1.0
	v_rcp_f32_e32 v34, v31
	v_div_scale_f32 v29, null, v27, v27, v20
	v_fmac_f32_e32 v19, v26, v7
	v_fmac_f32_e32 v15, v30, v15
	v_div_fmas_f32 v6, v14, v6, v9
	v_rcp_f32_e32 v35, v29
	v_mul_f32_e32 v25, v12, v25
	v_mul_f32_e32 v9, v8, v19
	;; [unrolled: 1-line block ×3, first 2 shown]
	v_fma_f32 v30, -v31, v34, 1.0
	v_mul_f32_e32 v21, 4.0, v21
	s_waitcnt lgkmcnt(0)
	v_fma_f32 v18, v18, v22, -v25
	v_div_scale_f32 v19, null, v24, v24, v9
	v_fma_f32 v26, -v28, v7, v23
	v_fma_f32 v14, -v29, v35, 1.0
	v_fmac_f32_e32 v34, v30, v34
	v_div_scale_f32 v8, s1, v11, v32, v11
	v_fmac_f32_e32 v7, v26, v15
	v_fmac_f32_e32 v35, v14, v35
	v_rcp_f32_e32 v14, v19
	v_mul_f32_e32 v18, v21, v18
	v_mul_f32_e32 v30, v8, v34
	v_div_scale_f32 v25, s2, v20, v27, v20
	v_fma_f32 v23, -v28, v7, v23
	v_div_scale_f32 v36, null, v32, v32, v18
	s_mov_b32 vcc_lo, s0
	ds_bpermute_b32 v16, v1, v4
	v_fma_f32 v26, -v19, v14, 1.0
	ds_bpermute_b32 v1, v1, v2
	v_add_f32_e32 v12, v12, v22
	v_fma_f32 v21, -v31, v30, v8
	v_mul_f32_e32 v22, v25, v35
	v_fmac_f32_e32 v14, v26, v14
	v_rcp_f32_e32 v26, v36
	v_div_fmas_f32 v7, v23, v15, v7
	ds_bpermute_b32 v15, v17, v5
	v_fmac_f32_e32 v30, v21, v34
	v_fma_f32 v21, -v29, v22, v25
	v_div_scale_f32 v28, s3, v9, v24, v9
	ds_bpermute_b32 v23, v17, v32
	v_fma_f32 v8, -v31, v30, v8
	v_fmac_f32_e32 v22, v21, v35
	v_mul_f32_e32 v21, v28, v14
	v_fma_f32 v31, -v36, v26, 1.0
	s_mov_b32 vcc_lo, s1
	v_div_fixup_f32 v7, v7, v24, v10
	v_div_fmas_f32 v30, v8, v34, v30
	v_fma_f32 v8, -v29, v22, v25
	v_fma_f32 v25, -v19, v21, v28
	v_fmac_f32_e32 v26, v31, v26
	v_div_scale_f32 v29, s0, v18, v32, v18
	s_mov_b32 vcc_lo, s2
	v_fmac_f32_e32 v21, v25, v14
	v_div_fmas_f32 v8, v8, v35, v22
	v_mul_f32_e32 v22, v29, v26
	s_waitcnt lgkmcnt(2)
	v_add_f32_e32 v1, v2, v1
	s_waitcnt lgkmcnt(1)
	v_sub_f32_e32 v2, v15, v5
	v_fma_f32 v19, -v19, v21, v28
	v_div_fixup_f32 v15, v8, v27, v20
	v_fma_f32 v20, -v36, v22, v29
	s_waitcnt lgkmcnt(0)
	v_add_f32_e32 v8, v32, v23
	v_mul_f32_e32 v25, v2, v23
	s_mov_b32 vcc_lo, s3
	v_add_f32_e32 v1, v1, v15
	v_div_fmas_f32 v14, v19, v14, v21
	v_fmac_f32_e32 v22, v20, v26
	v_div_scale_f32 v19, null, v8, v8, v25
	s_mov_b32 vcc_lo, s0
	v_div_fixup_f32 v9, v14, v24, v9
	v_fma_f32 v10, -v36, v22, v29
	v_rcp_f32_e32 v14, v19
	v_div_fixup_f32 v6, v6, v32, v13
	v_add_f32_e32 v7, v12, v7
	v_add_f32_e32 v1, v9, v1
	v_div_fmas_f32 v10, v10, v26, v22
	v_cmp_lt_f32_e32 vcc_lo, v4, v16
	v_div_fixup_f32 v11, v30, v32, v11
	v_add_f32_e32 v6, v33, v6
	v_sub_f32_e32 v29, v32, v23
	v_div_fixup_f32 v9, v10, v32, v18
	v_fma_f32 v10, -v19, v14, 1.0
	v_cndmask_b32_e32 v4, v4, v16, vcc_lo
	v_add_f32_e32 v7, v11, v7
	v_mul_f32_e32 v11, v2, v2
	v_add_f32_e32 v1, v9, v1
	v_fmac_f32_e32 v14, v10, v14
	v_div_scale_f32 v9, vcc_lo, v25, v8, v25
	ds_bpermute_b32 v10, v17, v3
	ds_bpermute_b32 v15, v17, v6
	v_mul_f32_e32 v20, v2, v11
	v_mul_f32_e32 v16, v9, v14
	;; [unrolled: 1-line block ×4, first 2 shown]
	ds_bpermute_b32 v18, v17, v7
	v_mul_f32_e32 v27, v32, v20
	v_fma_f32 v22, -v19, v16, v9
	v_mul_f32_e32 v20, v2, v20
	v_mul_f32_e32 v12, v12, v23
	;; [unrolled: 1-line block ×4, first 2 shown]
	v_fmac_f32_e32 v16, v22, v14
	v_mul_f32_e32 v20, v32, v20
	v_div_scale_f32 v26, null, v8, v8, v12
	v_mul_f32_e32 v11, 0x40c00000, v11
	v_fma_f32 v19, -v19, v16, v9
	v_mul_f32_e32 v20, v20, v23
	s_waitcnt lgkmcnt(2)
	v_cmp_gt_f32_e64 s0, v3, v10
	v_rcp_f32_e32 v22, v26
	ds_bpermute_b32 v13, v17, v4
	ds_bpermute_b32 v17, v17, v1
	v_cndmask_b32_e64 v9, v3, v10, s0
	v_div_fmas_f32 v10, v19, v14, v16
	v_mul_f32_e32 v14, v6, v23
	v_mul_f32_e32 v3, v29, v27
	;; [unrolled: 1-line block ×3, first 2 shown]
	v_mul_f32_e32 v2, 4.0, v2
	v_fma_f32 v16, -v26, v22, 1.0
	s_waitcnt lgkmcnt(3)
	v_fma_f32 v14, v32, v15, -v14
	v_div_scale_f32 v19, null, v21, v21, v3
	v_div_fixup_f32 v25, v10, v8, v25
	v_fmac_f32_e32 v22, v16, v22
	v_mul_f32_e32 v14, v27, v14
	v_fma_f32 v27, -v32, v23, v24
	v_rcp_f32_e32 v29, v19
	v_mul_f32_e32 v24, v24, v15
	v_div_scale_f32 v16, vcc_lo, v12, v8, v12
	v_fmac_f32_e32 v27, v23, v23
	v_div_scale_f32 v31, null, v8, v8, v14
	v_mul_f32_e32 v30, v16, v22
	s_waitcnt lgkmcnt(0)
	v_add_f32_e32 v1, v1, v17
	v_mul_f32_e32 v20, v27, v20
	v_mul_f32_e32 v27, v23, v23
	v_fma_f32 v33, -v19, v29, 1.0
	v_mul_f32_e32 v23, v7, v23
	v_rcp_f32_e32 v34, v31
	v_fma_f32 v10, -v26, v30, v16
	v_fmac_f32_e32 v24, v27, v6
	v_fmac_f32_e32 v29, v33, v29
	v_div_scale_f32 v33, null, v28, v28, v20
	v_fma_f32 v23, v32, v18, -v23
	v_mul_f32_e32 v11, v11, v24
	v_div_scale_f32 v27, s0, v3, v21, v3
	v_rcp_f32_e32 v36, v33
	v_mul_f32_e32 v2, v2, v23
	v_div_scale_f32 v24, null, v21, v21, v11
	v_fma_f32 v35, -v31, v34, 1.0
	v_fmac_f32_e32 v30, v10, v22
	v_mul_f32_e32 v10, v27, v29
	v_rcp_f32_e32 v38, v24
	v_div_scale_f32 v39, null, v8, v8, v2
	v_fma_f32 v37, -v33, v36, 1.0
	v_fmac_f32_e32 v34, v35, v34
	v_div_scale_f32 v35, s1, v14, v8, v14
	v_fma_f32 v16, -v26, v30, v16
	v_fmac_f32_e32 v36, v37, v36
	v_fma_f32 v26, -v19, v10, v27
	v_fma_f32 v37, -v24, v38, 1.0
	v_div_scale_f32 v23, s2, v20, v28, v20
	v_mul_f32_e32 v32, v35, v34
	v_fmac_f32_e32 v10, v26, v29
	v_fmac_f32_e32 v38, v37, v38
	v_rcp_f32_e32 v37, v39
	v_mul_f32_e32 v40, v23, v36
	v_fma_f32 v26, -v31, v32, v35
	v_div_scale_f32 v41, s3, v11, v21, v11
	v_div_fmas_f32 v16, v16, v22, v30
	v_fma_f32 v19, -v19, v10, v27
	v_fma_f32 v22, -v33, v40, v23
	v_fmac_f32_e32 v32, v26, v34
	v_mul_f32_e32 v26, v41, v38
	v_fma_f32 v27, -v39, v37, 1.0
	s_mov_b32 vcc_lo, s0
	v_fmac_f32_e32 v40, v22, v36
	v_div_fmas_f32 v10, v19, v29, v10
	v_fma_f32 v19, -v31, v32, v35
	v_fmac_f32_e32 v37, v27, v37
	v_div_scale_f32 v27, s0, v2, v8, v2
	v_fma_f32 v22, -v24, v26, v41
	v_fma_f32 v23, -v33, v40, v23
	s_mov_b32 vcc_lo, s1
	v_mul_f32_e32 v29, v27, v37
	v_div_fmas_f32 v19, v19, v34, v32
	s_mov_b32 vcc_lo, s2
	v_fmac_f32_e32 v26, v22, v38
	v_div_fmas_f32 v22, v23, v36, v40
	v_fma_f32 v23, -v39, v29, v27
	v_add_f32_e32 v6, v6, v15
	s_mov_b32 vcc_lo, s3
	v_fma_f32 v15, -v24, v26, v41
	v_div_fixup_f32 v17, v22, v28, v20
	v_fmac_f32_e32 v29, v23, v37
	v_div_fixup_f32 v3, v10, v21, v3
	v_add_f32_e32 v7, v7, v18
	v_div_fmas_f32 v15, v15, v38, v26
	s_mov_b32 vcc_lo, s0
	v_fma_f32 v10, -v39, v29, v27
	v_add_f32_e32 v1, v1, v17
	v_div_fixup_f32 v12, v16, v8, v12
	v_div_fixup_f32 v11, v15, v21, v11
	v_add_f32_e32 v3, v7, v3
	v_div_fmas_f32 v10, v10, v37, v29
	v_div_fixup_f32 v7, v19, v8, v14
	v_cmp_lt_f32_e32 vcc_lo, v4, v13
	v_add_f32_e32 v1, v11, v1
	v_add_f32_e32 v11, v5, v25
	v_div_fixup_f32 v2, v10, v8, v2
	v_add_f32_e32 v12, v6, v12
	v_cndmask_b32_e32 v10, v4, v13, vcc_lo
	v_add_f32_e32 v13, v7, v3
	v_add_f32_e32 v14, v2, v1
.LBB35_18:
	s_or_b32 exec_lo, exec_lo, s4
	s_branch .LBB35_86
.LBB35_19:
                                        ; implicit-def: $vgpr7
                                        ; implicit-def: $vgpr4
	s_branch .LBB35_99
.LBB35_20:
                                        ; implicit-def: $vgpr14
                                        ; implicit-def: $vgpr13
                                        ; implicit-def: $vgpr8
                                        ; implicit-def: $vgpr10
	s_cbranch_execz .LBB35_54
; %bb.21:
	s_sub_i32 s5, s8, s24
	s_mov_b32 s0, exec_lo
                                        ; implicit-def: $vgpr11
	v_cmpx_gt_u32_e64 s5, v0
	s_cbranch_execz .LBB35_23
; %bb.22:
	v_lshlrev_b32_e32 v1, 2, v0
	global_load_dword v11, v1, s[22:23]
.LBB35_23:
	s_or_b32 exec_lo, exec_lo, s0
	v_or_b32_e32 v1, 0x100, v0
                                        ; implicit-def: $vgpr3
	v_cmp_gt_u32_e64 s1, s5, v1
	s_and_saveexec_b32 s0, s1
	s_cbranch_execz .LBB35_25
; %bb.24:
	v_lshlrev_b32_e32 v1, 2, v0
	global_load_dword v3, v1, s[22:23] offset:1024
.LBB35_25:
	s_or_b32 exec_lo, exec_lo, s0
	v_or_b32_e32 v1, 0x200, v0
                                        ; implicit-def: $vgpr2
	v_cmp_gt_u32_e32 vcc_lo, s5, v1
	s_and_saveexec_b32 s0, vcc_lo
	s_cbranch_execz .LBB35_27
; %bb.26:
	v_lshlrev_b32_e32 v1, 2, v1
	global_load_dword v2, v1, s[22:23]
.LBB35_27:
	s_or_b32 exec_lo, exec_lo, s0
	v_or_b32_e32 v4, 0x300, v0
                                        ; implicit-def: $vgpr1
	v_cmp_gt_u32_e64 s0, s5, v4
	s_and_saveexec_b32 s2, s0
	s_cbranch_execz .LBB35_29
; %bb.28:
	v_lshlrev_b32_e32 v1, 2, v4
	global_load_dword v1, v1, s[22:23]
.LBB35_29:
	s_or_b32 exec_lo, exec_lo, s2
	v_mov_b32_e32 v8, 1.0
	v_mov_b32_e32 v12, 0
	s_waitcnt vmcnt(0)
	v_mov_b32_e32 v10, v11
	v_mov_b32_e32 v9, v11
	;; [unrolled: 1-line block ×4, first 2 shown]
	s_and_saveexec_b32 s2, s1
	s_cbranch_execnz .LBB35_131
; %bb.30:
	s_or_b32 exec_lo, exec_lo, s2
	s_and_saveexec_b32 s19, vcc_lo
	s_cbranch_execnz .LBB35_132
.LBB35_31:
	s_or_b32 exec_lo, exec_lo, s19
	s_and_saveexec_b32 s19, s0
	s_cbranch_execz .LBB35_33
.LBB35_32:
	v_add_f32_e32 v2, 1.0, v8
	v_sub_f32_e32 v3, v1, v11
	v_cmp_lt_f32_e32 vcc_lo, v1, v9
	v_fma_f32 v16, v8, 0, -v12
	v_add_f32_e32 v6, -1.0, v8
	v_fma_f32 v18, v8, v8, -v8
	v_div_scale_f32 v4, null, v2, v2, v3
	v_mul_f32_e32 v7, v3, v3
	v_cndmask_b32_e32 v9, v9, v1, vcc_lo
	v_div_scale_f32 v21, vcc_lo, v3, v2, v3
	v_rcp_f32_e32 v15, v4
	v_mul_f32_e32 v19, v7, v8
	v_mul_f32_e32 v24, v3, v7
	;; [unrolled: 1-line block ×5, first 2 shown]
	v_div_scale_f32 v22, null, v2, v2, v19
	v_mul_f32_e32 v16, v25, v16
	v_add_f32_e32 v18, 1.0, v18
	v_fma_f32 v23, -v4, v15, 1.0
	v_rcp_f32_e32 v26, v22
	v_add_f32_e32 v5, 0, v12
	v_mul_f32_e32 v27, v2, v20
	v_mul_f32_e32 v7, 0x40c00000, v7
	v_fmac_f32_e32 v15, v23, v15
	v_mul_f32_e32 v23, v8, v24
	v_mul_f32_e32 v24, v3, v24
	v_fmac_f32_e32 v12, 0, v17
	v_div_scale_f32 v31, null, v2, v2, v16
	v_mul_f32_e32 v25, v21, v15
	v_mul_f32_e32 v6, v6, v23
	;; [unrolled: 1-line block ×3, first 2 shown]
	v_fma_f32 v28, -v22, v26, 1.0
	v_mul_f32_e32 v7, v7, v12
	v_fma_f32 v29, -v4, v25, v21
	v_div_scale_f32 v30, null, v20, v20, v6
	v_mul_f32_e32 v18, v24, v18
	v_fmac_f32_e32 v26, v28, v26
	v_fmac_f32_e32 v25, v29, v15
	v_rcp_f32_e32 v28, v30
	v_div_scale_f32 v23, s0, v19, v2, v19
	v_div_scale_f32 v17, null, v27, v27, v18
	v_fma_f32 v4, -v4, v25, v21
	v_rcp_f32_e32 v29, v31
	v_mul_f32_e32 v32, v23, v26
	v_rcp_f32_e32 v24, v17
	v_fma_f32 v8, v8, 0, -v13
	v_div_fmas_f32 v4, v4, v15, v25
	v_div_scale_f32 v25, null, v20, v20, v7
	v_fma_f32 v15, -v30, v28, 1.0
	v_fma_f32 v21, -v22, v32, v23
	v_div_fixup_f32 v4, v4, v2, v3
	v_rcp_f32_e32 v34, v25
	v_mul_f32_e32 v3, 4.0, v3
	v_fmac_f32_e32 v28, v15, v28
	v_div_scale_f32 v15, s1, v6, v20, v6
	v_fma_f32 v12, -v31, v29, 1.0
	v_fma_f32 v33, -v17, v24, 1.0
	v_mul_f32_e32 v3, v3, v8
	v_fmac_f32_e32 v32, v21, v26
	v_mul_f32_e32 v21, v15, v28
	v_fmac_f32_e32 v29, v12, v29
	v_div_scale_f32 v12, s2, v16, v2, v16
	v_fmac_f32_e32 v24, v33, v24
	v_fma_f32 v33, -v25, v34, 1.0
	v_div_scale_f32 v36, null, v2, v2, v3
	v_fma_f32 v22, -v22, v32, v23
	v_fma_f32 v23, -v30, v21, v15
	v_mul_f32_e32 v35, v12, v29
	v_div_scale_f32 v8, s3, v18, v27, v18
	v_fmac_f32_e32 v34, v33, v34
	v_rcp_f32_e32 v33, v36
	v_fmac_f32_e32 v21, v23, v28
	v_fma_f32 v23, -v31, v35, v12
	v_mul_f32_e32 v37, v8, v24
	v_div_scale_f32 v38, s4, v7, v20, v7
	v_fma_f32 v15, -v30, v21, v15
	v_fmac_f32_e32 v35, v23, v29
	v_fma_f32 v23, -v17, v37, v8
	s_mov_b32 vcc_lo, s0
	v_fma_f32 v30, -v36, v33, 1.0
	v_div_fmas_f32 v22, v22, v26, v32
	v_mul_f32_e32 v26, v38, v34
	v_fmac_f32_e32 v37, v23, v24
	v_div_scale_f32 v23, s0, v3, v2, v3
	v_fmac_f32_e32 v33, v30, v33
	s_mov_b32 vcc_lo, s1
	v_fma_f32 v8, -v17, v37, v8
	v_div_fmas_f32 v15, v15, v28, v21
	v_fma_f32 v21, -v25, v26, v38
	v_mul_f32_e32 v17, v23, v33
	v_fma_f32 v12, -v31, v35, v12
	s_mov_b32 vcc_lo, s2
	v_div_fixup_f32 v19, v22, v2, v19
	v_fmac_f32_e32 v26, v21, v34
	v_fma_f32 v21, -v36, v17, v23
	v_div_fmas_f32 v12, v12, v29, v35
	s_mov_b32 vcc_lo, s3
	v_add_f32_e32 v14, 0, v14
	v_div_fmas_f32 v8, v8, v24, v37
	v_fma_f32 v22, -v25, v26, v38
	v_fmac_f32_e32 v17, v21, v33
	s_mov_b32 vcc_lo, s4
	v_div_fixup_f32 v6, v15, v20, v6
	v_div_fixup_f32 v8, v8, v27, v18
	v_div_fmas_f32 v18, v22, v34, v26
	v_fma_f32 v15, -v36, v17, v23
	s_mov_b32 vcc_lo, s0
	v_add_f32_e32 v13, 0, v13
	v_add_f32_e32 v8, v14, v8
	v_div_fixup_f32 v7, v18, v20, v7
	v_div_fmas_f32 v14, v15, v33, v17
	v_add_f32_e32 v5, v5, v19
	v_add_f32_e32 v6, v13, v6
	v_div_fixup_f32 v12, v12, v2, v16
	v_add_f32_e32 v7, v7, v8
	v_div_fixup_f32 v3, v14, v2, v3
	v_cmp_lt_f32_e32 vcc_lo, v10, v1
	v_add_f32_e32 v11, v11, v4
	v_add_f32_e32 v13, v12, v6
	v_mov_b32_e32 v12, v5
	v_add_f32_e32 v14, v3, v7
	v_cndmask_b32_e32 v10, v10, v1, vcc_lo
	v_mov_b32_e32 v8, v2
.LBB35_33:
	s_or_b32 exec_lo, exec_lo, s19
	v_mbcnt_lo_u32_b32 v1, -1, 0
	s_min_u32 s5, s5, 0x100
	s_mov_b32 s0, exec_lo
	v_cmp_ne_u32_e32 vcc_lo, 31, v1
	v_add_nc_u32_e32 v17, 1, v1
	v_add_co_ci_u32_e64 v2, null, 0, v1, vcc_lo
	v_lshlrev_b32_e32 v2, 2, v2
	ds_bpermute_b32 v6, v2, v8
	ds_bpermute_b32 v15, v2, v9
	ds_bpermute_b32 v3, v2, v10
	ds_bpermute_b32 v16, v2, v11
	ds_bpermute_b32 v7, v2, v12
	ds_bpermute_b32 v4, v2, v13
	ds_bpermute_b32 v5, v2, v14
	v_and_b32_e32 v2, 0xe0, v0
	v_sub_nc_u32_e64 v2, s5, v2 clamp
	v_cmpx_lt_u32_e64 v17, v2
	s_xor_b32 s19, exec_lo, s0
	s_cbranch_execz .LBB35_35
; %bb.34:
	s_waitcnt lgkmcnt(3)
	v_sub_f32_e32 v16, v16, v11
	v_cmp_gt_f32_e32 vcc_lo, v9, v15
	v_add_f32_e32 v17, v8, v6
	v_mul_f32_e32 v22, v12, v6
	v_mul_f32_e32 v23, v8, v8
	;; [unrolled: 1-line block ×3, first 2 shown]
	v_cndmask_b32_e32 v9, v9, v15, vcc_lo
	v_mul_f32_e32 v15, v16, v6
	v_mul_f32_e32 v29, 0x40400000, v16
	s_waitcnt lgkmcnt(2)
	v_fma_f32 v22, v8, v7, -v22
	v_mul_f32_e32 v25, v8, v20
	v_mul_f32_e32 v27, v16, v20
	v_div_scale_f32 v21, null, v17, v17, v15
	v_div_scale_f32 v34, vcc_lo, v15, v17, v15
	v_mul_f32_e32 v25, v25, v6
	v_rcp_f32_e32 v26, v21
	v_mul_f32_e32 v22, v29, v22
	v_mul_f32_e32 v30, v8, v27
	;; [unrolled: 1-line block ×3, first 2 shown]
	v_div_scale_f32 v32, null, v17, v17, v25
	v_sub_f32_e32 v19, v8, v6
	v_fma_f32 v31, -v8, v6, v23
	v_mul_f32_e32 v30, v30, v6
	v_rcp_f32_e32 v35, v32
	v_fma_f32 v33, -v21, v26, 1.0
	v_mul_f32_e32 v27, v8, v27
	v_add_f32_e32 v18, v12, v7
	v_mul_f32_e32 v24, v6, v6
	v_mul_f32_e32 v28, v17, v17
	v_fmac_f32_e32 v26, v33, v26
	v_mul_f32_e32 v7, v23, v7
	v_mul_f32_e32 v19, v19, v30
	v_fmac_f32_e32 v31, v6, v6
	v_fma_f32 v33, -v32, v35, 1.0
	v_mul_f32_e32 v29, v34, v26
	v_mul_f32_e32 v27, v27, v6
	;; [unrolled: 1-line block ×3, first 2 shown]
	v_div_scale_f32 v30, null, v28, v28, v19
	v_fma_f32 v36, -v21, v29, v34
	v_fmac_f32_e32 v35, v33, v35
	v_div_scale_f32 v33, null, v17, v17, v22
	v_mul_f32_e32 v27, v31, v27
	v_fmac_f32_e32 v29, v36, v26
	v_mul_f32_e32 v20, 0x40c00000, v20
	v_fmac_f32_e32 v7, v12, v24
	v_rcp_f32_e32 v37, v30
	v_div_scale_f32 v38, s0, v25, v17, v25
	v_fma_f32 v21, -v21, v29, v34
	v_mul_f32_e32 v7, v20, v7
	v_mul_f32_e32 v6, v13, v6
	;; [unrolled: 1-line block ×3, first 2 shown]
	v_mul_f32_e32 v16, 4.0, v16
	v_div_fmas_f32 v21, v21, v26, v29
	v_rcp_f32_e32 v26, v33
	v_fma_f32 v36, -v30, v37, 1.0
	s_waitcnt lgkmcnt(1)
	v_fma_f32 v6, v8, v4, -v6
	v_fma_f32 v29, -v32, v34, v38
	v_div_fixup_f32 v15, v21, v17, v15
	v_div_scale_f32 v21, null, v23, v23, v27
	v_fmac_f32_e32 v37, v36, v37
	v_div_scale_f32 v12, s1, v19, v28, v19
	v_fma_f32 v24, -v33, v26, 1.0
	v_rcp_f32_e32 v31, v21
	v_mul_f32_e32 v6, v16, v6
	v_fmac_f32_e32 v34, v29, v35
	v_mul_f32_e32 v20, v12, v37
	v_fmac_f32_e32 v26, v24, v26
	v_div_scale_f32 v24, null, v28, v28, v7
	v_div_scale_f32 v40, null, v17, v17, v6
	v_div_scale_f32 v29, s2, v22, v17, v22
	v_rcp_f32_e32 v39, v24
	v_fma_f32 v36, -v21, v31, 1.0
	v_fma_f32 v8, -v32, v34, v38
	v_fma_f32 v32, -v30, v20, v12
	v_div_scale_f32 v16, s3, v27, v23, v27
	v_fmac_f32_e32 v31, v36, v31
	v_mul_f32_e32 v38, v29, v26
	v_fmac_f32_e32 v20, v32, v37
	s_mov_b32 vcc_lo, s0
	v_fma_f32 v36, -v24, v39, 1.0
	v_mul_f32_e32 v41, v16, v31
	v_fma_f32 v32, -v33, v38, v29
	v_div_scale_f32 v42, s4, v7, v28, v7
	v_fmac_f32_e32 v39, v36, v39
	v_rcp_f32_e32 v36, v40
	v_div_fmas_f32 v8, v8, v35, v34
	v_fma_f32 v12, -v30, v20, v12
	v_fma_f32 v30, -v21, v41, v16
	v_fmac_f32_e32 v38, v32, v26
	v_mul_f32_e32 v32, v42, v39
	s_mov_b32 vcc_lo, s1
	s_waitcnt lgkmcnt(0)
	v_add_f32_e32 v5, v14, v5
	v_fmac_f32_e32 v41, v30, v31
	v_div_scale_f32 v30, s0, v6, v17, v6
	v_fma_f32 v34, -v40, v36, 1.0
	v_div_fmas_f32 v12, v12, v37, v20
	v_fma_f32 v20, -v33, v38, v29
	v_fma_f32 v29, -v24, v32, v42
	;; [unrolled: 1-line block ×3, first 2 shown]
	v_fmac_f32_e32 v36, v34, v36
	s_mov_b32 vcc_lo, s2
	v_add_f32_e32 v4, v13, v4
	v_div_fmas_f32 v20, v20, v26, v38
	v_fmac_f32_e32 v32, v29, v39
	v_mul_f32_e32 v21, v30, v36
	s_mov_b32 vcc_lo, s3
	v_div_fixup_f32 v8, v8, v17, v25
	v_div_fmas_f32 v16, v16, v31, v41
	v_fma_f32 v14, -v24, v32, v42
	v_fma_f32 v26, -v40, v21, v30
	s_mov_b32 vcc_lo, s4
	v_div_fixup_f32 v12, v12, v28, v19
	v_div_fixup_f32 v16, v16, v23, v27
	v_div_fmas_f32 v14, v14, v39, v32
	v_fmac_f32_e32 v21, v26, v36
	s_mov_b32 vcc_lo, s0
	v_add_f32_e32 v8, v18, v8
	v_add_f32_e32 v5, v5, v16
	v_div_fixup_f32 v7, v14, v28, v7
	v_fma_f32 v13, -v40, v21, v30
	v_add_f32_e32 v4, v4, v12
	v_div_fixup_f32 v12, v20, v17, v22
	v_add_f32_e32 v11, v11, v15
	v_add_f32_e32 v5, v7, v5
	v_div_fmas_f32 v13, v13, v36, v21
	v_cmp_lt_f32_e32 vcc_lo, v10, v3
	v_div_fixup_f32 v6, v13, v17, v6
	v_cndmask_b32_e32 v10, v10, v3, vcc_lo
	v_add_f32_e32 v13, v12, v4
	v_mov_b32_e32 v12, v8
	v_mov_b32_e32 v8, v17
	v_add_f32_e32 v14, v6, v5
.LBB35_35:
	s_or_b32 exec_lo, exec_lo, s19
	v_cmp_gt_u32_e32 vcc_lo, 30, v1
	v_add_nc_u32_e32 v17, 2, v1
	s_mov_b32 s19, exec_lo
	s_waitcnt lgkmcnt(4)
	v_cndmask_b32_e64 v3, 0, 2, vcc_lo
	s_waitcnt lgkmcnt(0)
	v_add_lshl_u32 v5, v3, v1, 2
	ds_bpermute_b32 v6, v5, v8
	ds_bpermute_b32 v15, v5, v9
	;; [unrolled: 1-line block ×7, first 2 shown]
	v_cmpx_lt_u32_e64 v17, v2
	s_cbranch_execz .LBB35_37
; %bb.36:
	s_waitcnt lgkmcnt(3)
	v_sub_f32_e32 v16, v16, v11
	v_cmp_gt_f32_e32 vcc_lo, v9, v15
	v_add_f32_e32 v17, v8, v6
	v_mul_f32_e32 v22, v12, v6
	v_mul_f32_e32 v23, v8, v8
	v_mul_f32_e32 v20, v16, v16
	v_cndmask_b32_e32 v9, v9, v15, vcc_lo
	v_mul_f32_e32 v15, v16, v6
	v_mul_f32_e32 v29, 0x40400000, v16
	s_waitcnt lgkmcnt(2)
	v_fma_f32 v22, v8, v7, -v22
	v_mul_f32_e32 v25, v8, v20
	v_mul_f32_e32 v27, v16, v20
	v_div_scale_f32 v21, null, v17, v17, v15
	v_div_scale_f32 v34, vcc_lo, v15, v17, v15
	v_mul_f32_e32 v25, v25, v6
	v_rcp_f32_e32 v26, v21
	v_mul_f32_e32 v22, v29, v22
	v_mul_f32_e32 v30, v8, v27
	;; [unrolled: 1-line block ×3, first 2 shown]
	v_div_scale_f32 v32, null, v17, v17, v25
	v_sub_f32_e32 v19, v8, v6
	v_fma_f32 v31, -v8, v6, v23
	v_mul_f32_e32 v30, v30, v6
	v_rcp_f32_e32 v35, v32
	v_fma_f32 v33, -v21, v26, 1.0
	v_mul_f32_e32 v27, v8, v27
	v_add_f32_e32 v18, v12, v7
	v_mul_f32_e32 v24, v6, v6
	v_mul_f32_e32 v28, v17, v17
	v_fmac_f32_e32 v26, v33, v26
	v_mul_f32_e32 v7, v23, v7
	v_mul_f32_e32 v19, v19, v30
	v_fmac_f32_e32 v31, v6, v6
	v_fma_f32 v33, -v32, v35, 1.0
	v_mul_f32_e32 v29, v34, v26
	v_mul_f32_e32 v27, v27, v6
	;; [unrolled: 1-line block ×3, first 2 shown]
	v_div_scale_f32 v30, null, v28, v28, v19
	v_fma_f32 v36, -v21, v29, v34
	v_fmac_f32_e32 v35, v33, v35
	v_div_scale_f32 v33, null, v17, v17, v22
	v_mul_f32_e32 v27, v31, v27
	v_fmac_f32_e32 v29, v36, v26
	v_mul_f32_e32 v20, 0x40c00000, v20
	v_fmac_f32_e32 v7, v12, v24
	v_rcp_f32_e32 v37, v30
	v_div_scale_f32 v38, s0, v25, v17, v25
	v_fma_f32 v21, -v21, v29, v34
	v_mul_f32_e32 v7, v20, v7
	v_mul_f32_e32 v6, v13, v6
	;; [unrolled: 1-line block ×3, first 2 shown]
	v_mul_f32_e32 v16, 4.0, v16
	v_div_fmas_f32 v21, v21, v26, v29
	v_rcp_f32_e32 v26, v33
	v_fma_f32 v36, -v30, v37, 1.0
	s_waitcnt lgkmcnt(1)
	v_fma_f32 v6, v8, v4, -v6
	v_fma_f32 v29, -v32, v34, v38
	v_div_fixup_f32 v15, v21, v17, v15
	v_div_scale_f32 v21, null, v23, v23, v27
	v_fmac_f32_e32 v37, v36, v37
	v_div_scale_f32 v12, s1, v19, v28, v19
	v_fma_f32 v24, -v33, v26, 1.0
	v_rcp_f32_e32 v31, v21
	v_mul_f32_e32 v6, v16, v6
	v_fmac_f32_e32 v34, v29, v35
	v_mul_f32_e32 v20, v12, v37
	v_fmac_f32_e32 v26, v24, v26
	v_div_scale_f32 v24, null, v28, v28, v7
	v_div_scale_f32 v40, null, v17, v17, v6
	v_div_scale_f32 v29, s2, v22, v17, v22
	v_rcp_f32_e32 v39, v24
	v_fma_f32 v36, -v21, v31, 1.0
	v_fma_f32 v8, -v32, v34, v38
	v_fma_f32 v32, -v30, v20, v12
	v_div_scale_f32 v16, s3, v27, v23, v27
	v_fmac_f32_e32 v31, v36, v31
	v_mul_f32_e32 v38, v29, v26
	v_fmac_f32_e32 v20, v32, v37
	s_mov_b32 vcc_lo, s0
	v_fma_f32 v36, -v24, v39, 1.0
	v_mul_f32_e32 v41, v16, v31
	v_fma_f32 v32, -v33, v38, v29
	v_div_scale_f32 v42, s4, v7, v28, v7
	v_fmac_f32_e32 v39, v36, v39
	v_rcp_f32_e32 v36, v40
	v_div_fmas_f32 v8, v8, v35, v34
	v_fma_f32 v12, -v30, v20, v12
	v_fma_f32 v30, -v21, v41, v16
	v_fmac_f32_e32 v38, v32, v26
	v_mul_f32_e32 v32, v42, v39
	s_mov_b32 vcc_lo, s1
	s_waitcnt lgkmcnt(0)
	v_add_f32_e32 v5, v14, v5
	v_fmac_f32_e32 v41, v30, v31
	v_div_scale_f32 v30, s0, v6, v17, v6
	v_fma_f32 v34, -v40, v36, 1.0
	v_div_fmas_f32 v12, v12, v37, v20
	v_fma_f32 v20, -v33, v38, v29
	v_fma_f32 v29, -v24, v32, v42
	;; [unrolled: 1-line block ×3, first 2 shown]
	v_fmac_f32_e32 v36, v34, v36
	s_mov_b32 vcc_lo, s2
	v_add_f32_e32 v4, v13, v4
	v_div_fmas_f32 v20, v20, v26, v38
	v_fmac_f32_e32 v32, v29, v39
	v_mul_f32_e32 v21, v30, v36
	s_mov_b32 vcc_lo, s3
	v_div_fixup_f32 v8, v8, v17, v25
	v_div_fmas_f32 v16, v16, v31, v41
	v_fma_f32 v14, -v24, v32, v42
	v_fma_f32 v26, -v40, v21, v30
	s_mov_b32 vcc_lo, s4
	v_div_fixup_f32 v12, v12, v28, v19
	v_div_fixup_f32 v16, v16, v23, v27
	v_div_fmas_f32 v14, v14, v39, v32
	v_fmac_f32_e32 v21, v26, v36
	s_mov_b32 vcc_lo, s0
	v_add_f32_e32 v8, v18, v8
	v_add_f32_e32 v5, v5, v16
	v_div_fixup_f32 v7, v14, v28, v7
	v_fma_f32 v13, -v40, v21, v30
	v_add_f32_e32 v4, v4, v12
	v_div_fixup_f32 v12, v20, v17, v22
	v_add_f32_e32 v11, v11, v15
	v_add_f32_e32 v5, v7, v5
	v_div_fmas_f32 v13, v13, v36, v21
	v_cmp_lt_f32_e32 vcc_lo, v10, v3
	v_div_fixup_f32 v6, v13, v17, v6
	v_cndmask_b32_e32 v10, v10, v3, vcc_lo
	v_add_f32_e32 v13, v12, v4
	v_mov_b32_e32 v12, v8
	v_mov_b32_e32 v8, v17
	v_add_f32_e32 v14, v6, v5
.LBB35_37:
	s_or_b32 exec_lo, exec_lo, s19
	v_cmp_gt_u32_e32 vcc_lo, 28, v1
	v_add_nc_u32_e32 v17, 4, v1
	s_mov_b32 s19, exec_lo
	s_waitcnt lgkmcnt(4)
	v_cndmask_b32_e64 v3, 0, 4, vcc_lo
	s_waitcnt lgkmcnt(0)
	v_add_lshl_u32 v5, v3, v1, 2
	ds_bpermute_b32 v6, v5, v8
	ds_bpermute_b32 v15, v5, v9
	;; [unrolled: 1-line block ×7, first 2 shown]
	v_cmpx_lt_u32_e64 v17, v2
	s_cbranch_execz .LBB35_39
; %bb.38:
	s_waitcnt lgkmcnt(3)
	v_sub_f32_e32 v16, v16, v11
	v_cmp_gt_f32_e32 vcc_lo, v9, v15
	v_add_f32_e32 v17, v8, v6
	v_mul_f32_e32 v22, v12, v6
	v_mul_f32_e32 v23, v8, v8
	;; [unrolled: 1-line block ×3, first 2 shown]
	v_cndmask_b32_e32 v9, v9, v15, vcc_lo
	v_mul_f32_e32 v15, v16, v6
	v_mul_f32_e32 v29, 0x40400000, v16
	s_waitcnt lgkmcnt(2)
	v_fma_f32 v22, v8, v7, -v22
	v_mul_f32_e32 v25, v8, v20
	v_mul_f32_e32 v27, v16, v20
	v_div_scale_f32 v21, null, v17, v17, v15
	v_div_scale_f32 v34, vcc_lo, v15, v17, v15
	v_mul_f32_e32 v25, v25, v6
	v_rcp_f32_e32 v26, v21
	v_mul_f32_e32 v22, v29, v22
	v_mul_f32_e32 v30, v8, v27
	;; [unrolled: 1-line block ×3, first 2 shown]
	v_div_scale_f32 v32, null, v17, v17, v25
	v_sub_f32_e32 v19, v8, v6
	v_fma_f32 v31, -v8, v6, v23
	v_mul_f32_e32 v30, v30, v6
	v_rcp_f32_e32 v35, v32
	v_fma_f32 v33, -v21, v26, 1.0
	v_mul_f32_e32 v27, v8, v27
	v_add_f32_e32 v18, v12, v7
	v_mul_f32_e32 v24, v6, v6
	v_mul_f32_e32 v28, v17, v17
	v_fmac_f32_e32 v26, v33, v26
	v_mul_f32_e32 v7, v23, v7
	v_mul_f32_e32 v19, v19, v30
	v_fmac_f32_e32 v31, v6, v6
	v_fma_f32 v33, -v32, v35, 1.0
	v_mul_f32_e32 v29, v34, v26
	v_mul_f32_e32 v27, v27, v6
	;; [unrolled: 1-line block ×3, first 2 shown]
	v_div_scale_f32 v30, null, v28, v28, v19
	v_fma_f32 v36, -v21, v29, v34
	v_fmac_f32_e32 v35, v33, v35
	v_div_scale_f32 v33, null, v17, v17, v22
	v_mul_f32_e32 v27, v31, v27
	v_fmac_f32_e32 v29, v36, v26
	v_mul_f32_e32 v20, 0x40c00000, v20
	v_fmac_f32_e32 v7, v12, v24
	v_rcp_f32_e32 v37, v30
	v_div_scale_f32 v38, s0, v25, v17, v25
	v_fma_f32 v21, -v21, v29, v34
	v_mul_f32_e32 v7, v20, v7
	v_mul_f32_e32 v6, v13, v6
	;; [unrolled: 1-line block ×3, first 2 shown]
	v_mul_f32_e32 v16, 4.0, v16
	v_div_fmas_f32 v21, v21, v26, v29
	v_rcp_f32_e32 v26, v33
	v_fma_f32 v36, -v30, v37, 1.0
	s_waitcnt lgkmcnt(1)
	v_fma_f32 v6, v8, v4, -v6
	v_fma_f32 v29, -v32, v34, v38
	v_div_fixup_f32 v15, v21, v17, v15
	v_div_scale_f32 v21, null, v23, v23, v27
	v_fmac_f32_e32 v37, v36, v37
	v_div_scale_f32 v12, s1, v19, v28, v19
	v_fma_f32 v24, -v33, v26, 1.0
	v_rcp_f32_e32 v31, v21
	v_mul_f32_e32 v6, v16, v6
	v_fmac_f32_e32 v34, v29, v35
	v_mul_f32_e32 v20, v12, v37
	v_fmac_f32_e32 v26, v24, v26
	v_div_scale_f32 v24, null, v28, v28, v7
	v_div_scale_f32 v40, null, v17, v17, v6
	v_div_scale_f32 v29, s2, v22, v17, v22
	v_rcp_f32_e32 v39, v24
	v_fma_f32 v36, -v21, v31, 1.0
	v_fma_f32 v8, -v32, v34, v38
	v_fma_f32 v32, -v30, v20, v12
	v_div_scale_f32 v16, s3, v27, v23, v27
	v_fmac_f32_e32 v31, v36, v31
	v_mul_f32_e32 v38, v29, v26
	v_fmac_f32_e32 v20, v32, v37
	s_mov_b32 vcc_lo, s0
	v_fma_f32 v36, -v24, v39, 1.0
	v_mul_f32_e32 v41, v16, v31
	v_fma_f32 v32, -v33, v38, v29
	v_div_scale_f32 v42, s4, v7, v28, v7
	v_fmac_f32_e32 v39, v36, v39
	v_rcp_f32_e32 v36, v40
	v_div_fmas_f32 v8, v8, v35, v34
	v_fma_f32 v12, -v30, v20, v12
	v_fma_f32 v30, -v21, v41, v16
	v_fmac_f32_e32 v38, v32, v26
	v_mul_f32_e32 v32, v42, v39
	s_mov_b32 vcc_lo, s1
	s_waitcnt lgkmcnt(0)
	v_add_f32_e32 v5, v14, v5
	v_fmac_f32_e32 v41, v30, v31
	v_div_scale_f32 v30, s0, v6, v17, v6
	v_fma_f32 v34, -v40, v36, 1.0
	v_div_fmas_f32 v12, v12, v37, v20
	v_fma_f32 v20, -v33, v38, v29
	v_fma_f32 v29, -v24, v32, v42
	;; [unrolled: 1-line block ×3, first 2 shown]
	v_fmac_f32_e32 v36, v34, v36
	s_mov_b32 vcc_lo, s2
	v_add_f32_e32 v4, v13, v4
	v_div_fmas_f32 v20, v20, v26, v38
	v_fmac_f32_e32 v32, v29, v39
	v_mul_f32_e32 v21, v30, v36
	s_mov_b32 vcc_lo, s3
	v_div_fixup_f32 v8, v8, v17, v25
	v_div_fmas_f32 v16, v16, v31, v41
	v_fma_f32 v14, -v24, v32, v42
	v_fma_f32 v26, -v40, v21, v30
	s_mov_b32 vcc_lo, s4
	v_div_fixup_f32 v12, v12, v28, v19
	v_div_fixup_f32 v16, v16, v23, v27
	v_div_fmas_f32 v14, v14, v39, v32
	v_fmac_f32_e32 v21, v26, v36
	s_mov_b32 vcc_lo, s0
	v_add_f32_e32 v8, v18, v8
	v_add_f32_e32 v5, v5, v16
	v_div_fixup_f32 v7, v14, v28, v7
	v_fma_f32 v13, -v40, v21, v30
	v_add_f32_e32 v4, v4, v12
	v_div_fixup_f32 v12, v20, v17, v22
	v_add_f32_e32 v11, v11, v15
	v_add_f32_e32 v5, v7, v5
	v_div_fmas_f32 v13, v13, v36, v21
	v_cmp_lt_f32_e32 vcc_lo, v10, v3
	v_div_fixup_f32 v6, v13, v17, v6
	v_cndmask_b32_e32 v10, v10, v3, vcc_lo
	v_add_f32_e32 v13, v12, v4
	v_mov_b32_e32 v12, v8
	v_mov_b32_e32 v8, v17
	v_add_f32_e32 v14, v6, v5
.LBB35_39:
	s_or_b32 exec_lo, exec_lo, s19
	v_cmp_gt_u32_e32 vcc_lo, 24, v1
	v_add_nc_u32_e32 v17, 8, v1
	s_mov_b32 s19, exec_lo
	s_waitcnt lgkmcnt(4)
	v_cndmask_b32_e64 v3, 0, 8, vcc_lo
	s_waitcnt lgkmcnt(0)
	v_add_lshl_u32 v5, v3, v1, 2
	ds_bpermute_b32 v6, v5, v8
	ds_bpermute_b32 v15, v5, v9
	;; [unrolled: 1-line block ×7, first 2 shown]
	v_cmpx_lt_u32_e64 v17, v2
	s_cbranch_execz .LBB35_41
; %bb.40:
	s_waitcnt lgkmcnt(3)
	v_sub_f32_e32 v16, v16, v11
	v_cmp_gt_f32_e32 vcc_lo, v9, v15
	v_add_f32_e32 v17, v8, v6
	v_mul_f32_e32 v22, v12, v6
	v_mul_f32_e32 v23, v8, v8
	;; [unrolled: 1-line block ×3, first 2 shown]
	v_cndmask_b32_e32 v9, v9, v15, vcc_lo
	v_mul_f32_e32 v15, v16, v6
	v_mul_f32_e32 v29, 0x40400000, v16
	s_waitcnt lgkmcnt(2)
	v_fma_f32 v22, v8, v7, -v22
	v_mul_f32_e32 v25, v8, v20
	v_mul_f32_e32 v27, v16, v20
	v_div_scale_f32 v21, null, v17, v17, v15
	v_div_scale_f32 v34, vcc_lo, v15, v17, v15
	v_mul_f32_e32 v25, v25, v6
	v_rcp_f32_e32 v26, v21
	v_mul_f32_e32 v22, v29, v22
	v_mul_f32_e32 v30, v8, v27
	;; [unrolled: 1-line block ×3, first 2 shown]
	v_div_scale_f32 v32, null, v17, v17, v25
	v_sub_f32_e32 v19, v8, v6
	v_fma_f32 v31, -v8, v6, v23
	v_mul_f32_e32 v30, v30, v6
	v_rcp_f32_e32 v35, v32
	v_fma_f32 v33, -v21, v26, 1.0
	v_mul_f32_e32 v27, v8, v27
	v_add_f32_e32 v18, v12, v7
	v_mul_f32_e32 v24, v6, v6
	v_mul_f32_e32 v28, v17, v17
	v_fmac_f32_e32 v26, v33, v26
	v_mul_f32_e32 v7, v23, v7
	v_mul_f32_e32 v19, v19, v30
	v_fmac_f32_e32 v31, v6, v6
	v_fma_f32 v33, -v32, v35, 1.0
	v_mul_f32_e32 v29, v34, v26
	v_mul_f32_e32 v27, v27, v6
	;; [unrolled: 1-line block ×3, first 2 shown]
	v_div_scale_f32 v30, null, v28, v28, v19
	v_fma_f32 v36, -v21, v29, v34
	v_fmac_f32_e32 v35, v33, v35
	v_div_scale_f32 v33, null, v17, v17, v22
	v_mul_f32_e32 v27, v31, v27
	v_fmac_f32_e32 v29, v36, v26
	v_mul_f32_e32 v20, 0x40c00000, v20
	v_fmac_f32_e32 v7, v12, v24
	v_rcp_f32_e32 v37, v30
	v_div_scale_f32 v38, s0, v25, v17, v25
	v_fma_f32 v21, -v21, v29, v34
	v_mul_f32_e32 v7, v20, v7
	v_mul_f32_e32 v6, v13, v6
	;; [unrolled: 1-line block ×3, first 2 shown]
	v_mul_f32_e32 v16, 4.0, v16
	v_div_fmas_f32 v21, v21, v26, v29
	v_rcp_f32_e32 v26, v33
	v_fma_f32 v36, -v30, v37, 1.0
	s_waitcnt lgkmcnt(1)
	v_fma_f32 v6, v8, v4, -v6
	v_fma_f32 v29, -v32, v34, v38
	v_div_fixup_f32 v15, v21, v17, v15
	v_div_scale_f32 v21, null, v23, v23, v27
	v_fmac_f32_e32 v37, v36, v37
	v_div_scale_f32 v12, s1, v19, v28, v19
	v_fma_f32 v24, -v33, v26, 1.0
	v_rcp_f32_e32 v31, v21
	v_mul_f32_e32 v6, v16, v6
	v_fmac_f32_e32 v34, v29, v35
	v_mul_f32_e32 v20, v12, v37
	v_fmac_f32_e32 v26, v24, v26
	v_div_scale_f32 v24, null, v28, v28, v7
	v_div_scale_f32 v40, null, v17, v17, v6
	v_div_scale_f32 v29, s2, v22, v17, v22
	v_rcp_f32_e32 v39, v24
	v_fma_f32 v36, -v21, v31, 1.0
	v_fma_f32 v8, -v32, v34, v38
	v_fma_f32 v32, -v30, v20, v12
	v_div_scale_f32 v16, s3, v27, v23, v27
	v_fmac_f32_e32 v31, v36, v31
	v_mul_f32_e32 v38, v29, v26
	v_fmac_f32_e32 v20, v32, v37
	s_mov_b32 vcc_lo, s0
	v_fma_f32 v36, -v24, v39, 1.0
	v_mul_f32_e32 v41, v16, v31
	v_fma_f32 v32, -v33, v38, v29
	v_div_scale_f32 v42, s4, v7, v28, v7
	v_fmac_f32_e32 v39, v36, v39
	v_rcp_f32_e32 v36, v40
	v_div_fmas_f32 v8, v8, v35, v34
	v_fma_f32 v12, -v30, v20, v12
	v_fma_f32 v30, -v21, v41, v16
	v_fmac_f32_e32 v38, v32, v26
	v_mul_f32_e32 v32, v42, v39
	s_mov_b32 vcc_lo, s1
	s_waitcnt lgkmcnt(0)
	v_add_f32_e32 v5, v14, v5
	v_fmac_f32_e32 v41, v30, v31
	v_div_scale_f32 v30, s0, v6, v17, v6
	v_fma_f32 v34, -v40, v36, 1.0
	v_div_fmas_f32 v12, v12, v37, v20
	v_fma_f32 v20, -v33, v38, v29
	v_fma_f32 v29, -v24, v32, v42
	;; [unrolled: 1-line block ×3, first 2 shown]
	v_fmac_f32_e32 v36, v34, v36
	s_mov_b32 vcc_lo, s2
	v_add_f32_e32 v4, v13, v4
	v_div_fmas_f32 v20, v20, v26, v38
	v_fmac_f32_e32 v32, v29, v39
	v_mul_f32_e32 v21, v30, v36
	s_mov_b32 vcc_lo, s3
	v_div_fixup_f32 v8, v8, v17, v25
	v_div_fmas_f32 v16, v16, v31, v41
	v_fma_f32 v14, -v24, v32, v42
	v_fma_f32 v26, -v40, v21, v30
	s_mov_b32 vcc_lo, s4
	v_div_fixup_f32 v12, v12, v28, v19
	v_div_fixup_f32 v16, v16, v23, v27
	v_div_fmas_f32 v14, v14, v39, v32
	v_fmac_f32_e32 v21, v26, v36
	s_mov_b32 vcc_lo, s0
	v_add_f32_e32 v8, v18, v8
	v_add_f32_e32 v5, v5, v16
	v_div_fixup_f32 v7, v14, v28, v7
	v_fma_f32 v13, -v40, v21, v30
	v_add_f32_e32 v4, v4, v12
	v_div_fixup_f32 v12, v20, v17, v22
	v_add_f32_e32 v11, v11, v15
	v_add_f32_e32 v5, v7, v5
	v_div_fmas_f32 v13, v13, v36, v21
	v_cmp_lt_f32_e32 vcc_lo, v10, v3
	v_div_fixup_f32 v6, v13, v17, v6
	v_cndmask_b32_e32 v10, v10, v3, vcc_lo
	v_add_f32_e32 v13, v12, v4
	v_mov_b32_e32 v12, v8
	v_mov_b32_e32 v8, v17
	v_add_f32_e32 v14, v6, v5
.LBB35_41:
	s_or_b32 exec_lo, exec_lo, s19
	s_waitcnt lgkmcnt(4)
	v_lshlrev_b32_e32 v3, 2, v1
	v_add_nc_u32_e32 v18, 16, v1
	s_mov_b32 s19, exec_lo
	v_or_b32_e32 v6, 64, v3
	s_waitcnt lgkmcnt(2)
	ds_bpermute_b32 v7, v6, v8
	ds_bpermute_b32 v16, v6, v9
	s_waitcnt lgkmcnt(3)
	ds_bpermute_b32 v4, v6, v10
	ds_bpermute_b32 v17, v6, v11
	;; [unrolled: 1-line block ×3, first 2 shown]
	s_waitcnt lgkmcnt(5)
	ds_bpermute_b32 v5, v6, v13
	ds_bpermute_b32 v6, v6, v14
	v_cmpx_lt_u32_e64 v18, v2
	s_cbranch_execz .LBB35_43
; %bb.42:
	s_waitcnt lgkmcnt(3)
	v_sub_f32_e32 v2, v17, v11
	v_cmp_gt_f32_e32 vcc_lo, v9, v16
	v_add_f32_e32 v17, v8, v7
	v_mul_f32_e32 v22, v12, v7
	v_mul_f32_e32 v23, v8, v8
	;; [unrolled: 1-line block ×3, first 2 shown]
	v_cndmask_b32_e32 v9, v9, v16, vcc_lo
	v_mul_f32_e32 v16, v2, v7
	v_mul_f32_e32 v29, 0x40400000, v2
	s_waitcnt lgkmcnt(2)
	v_fma_f32 v22, v8, v15, -v22
	v_mul_f32_e32 v25, v8, v20
	v_mul_f32_e32 v27, v2, v20
	v_div_scale_f32 v21, null, v17, v17, v16
	v_div_scale_f32 v34, vcc_lo, v16, v17, v16
	v_mul_f32_e32 v25, v25, v7
	v_rcp_f32_e32 v26, v21
	v_mul_f32_e32 v22, v29, v22
	v_mul_f32_e32 v30, v8, v27
	;; [unrolled: 1-line block ×3, first 2 shown]
	v_div_scale_f32 v32, null, v17, v17, v25
	v_sub_f32_e32 v19, v8, v7
	v_fma_f32 v31, -v8, v7, v23
	v_mul_f32_e32 v30, v30, v7
	v_rcp_f32_e32 v35, v32
	v_fma_f32 v33, -v21, v26, 1.0
	v_mul_f32_e32 v27, v8, v27
	v_add_f32_e32 v18, v12, v15
	v_mul_f32_e32 v24, v7, v7
	v_mul_f32_e32 v28, v17, v17
	v_fmac_f32_e32 v26, v33, v26
	v_mul_f32_e32 v15, v23, v15
	v_mul_f32_e32 v19, v19, v30
	v_fmac_f32_e32 v31, v7, v7
	v_fma_f32 v33, -v32, v35, 1.0
	v_mul_f32_e32 v29, v34, v26
	v_mul_f32_e32 v27, v27, v7
	;; [unrolled: 1-line block ×3, first 2 shown]
	v_div_scale_f32 v30, null, v28, v28, v19
	v_fma_f32 v36, -v21, v29, v34
	v_fmac_f32_e32 v35, v33, v35
	v_div_scale_f32 v33, null, v17, v17, v22
	v_mul_f32_e32 v27, v31, v27
	v_fmac_f32_e32 v29, v36, v26
	v_mul_f32_e32 v20, 0x40c00000, v20
	v_fmac_f32_e32 v15, v12, v24
	v_rcp_f32_e32 v37, v30
	v_div_scale_f32 v38, s0, v25, v17, v25
	v_fma_f32 v21, -v21, v29, v34
	v_mul_f32_e32 v15, v20, v15
	v_mul_f32_e32 v7, v13, v7
	;; [unrolled: 1-line block ×3, first 2 shown]
	v_mul_f32_e32 v2, 4.0, v2
	v_div_fmas_f32 v21, v21, v26, v29
	v_rcp_f32_e32 v26, v33
	v_fma_f32 v36, -v30, v37, 1.0
	s_waitcnt lgkmcnt(1)
	v_fma_f32 v7, v8, v5, -v7
	v_fma_f32 v29, -v32, v34, v38
	v_div_fixup_f32 v16, v21, v17, v16
	v_div_scale_f32 v21, null, v23, v23, v27
	v_fmac_f32_e32 v37, v36, v37
	v_div_scale_f32 v12, s1, v19, v28, v19
	v_fma_f32 v24, -v33, v26, 1.0
	v_rcp_f32_e32 v31, v21
	v_mul_f32_e32 v2, v2, v7
	v_fmac_f32_e32 v34, v29, v35
	v_mul_f32_e32 v20, v12, v37
	v_fmac_f32_e32 v26, v24, v26
	v_div_scale_f32 v24, null, v28, v28, v15
	v_div_scale_f32 v40, null, v17, v17, v2
	v_div_scale_f32 v29, s2, v22, v17, v22
	v_rcp_f32_e32 v39, v24
	v_fma_f32 v36, -v21, v31, 1.0
	v_fma_f32 v8, -v32, v34, v38
	v_fma_f32 v32, -v30, v20, v12
	v_div_scale_f32 v7, s3, v27, v23, v27
	v_fmac_f32_e32 v31, v36, v31
	v_mul_f32_e32 v38, v29, v26
	v_fmac_f32_e32 v20, v32, v37
	s_mov_b32 vcc_lo, s0
	v_fma_f32 v36, -v24, v39, 1.0
	v_mul_f32_e32 v41, v7, v31
	v_fma_f32 v32, -v33, v38, v29
	v_div_scale_f32 v42, s4, v15, v28, v15
	v_fmac_f32_e32 v39, v36, v39
	v_rcp_f32_e32 v36, v40
	v_div_fmas_f32 v8, v8, v35, v34
	v_fma_f32 v12, -v30, v20, v12
	v_fma_f32 v30, -v21, v41, v7
	v_fmac_f32_e32 v38, v32, v26
	v_mul_f32_e32 v32, v42, v39
	s_mov_b32 vcc_lo, s1
	s_waitcnt lgkmcnt(0)
	v_add_f32_e32 v6, v14, v6
	v_fmac_f32_e32 v41, v30, v31
	v_div_scale_f32 v30, s0, v2, v17, v2
	v_fma_f32 v34, -v40, v36, 1.0
	v_div_fmas_f32 v12, v12, v37, v20
	v_fma_f32 v20, -v33, v38, v29
	v_fma_f32 v29, -v24, v32, v42
	;; [unrolled: 1-line block ×3, first 2 shown]
	v_fmac_f32_e32 v36, v34, v36
	s_mov_b32 vcc_lo, s2
	v_add_f32_e32 v5, v13, v5
	v_div_fmas_f32 v20, v20, v26, v38
	v_fmac_f32_e32 v32, v29, v39
	v_mul_f32_e32 v21, v30, v36
	s_mov_b32 vcc_lo, s3
	v_div_fixup_f32 v8, v8, v17, v25
	v_div_fmas_f32 v7, v7, v31, v41
	v_fma_f32 v14, -v24, v32, v42
	v_fma_f32 v26, -v40, v21, v30
	s_mov_b32 vcc_lo, s4
	v_div_fixup_f32 v12, v12, v28, v19
	v_div_fixup_f32 v7, v7, v23, v27
	v_div_fmas_f32 v14, v14, v39, v32
	v_fmac_f32_e32 v21, v26, v36
	s_mov_b32 vcc_lo, s0
	v_add_f32_e32 v8, v18, v8
	v_add_f32_e32 v6, v6, v7
	v_div_fixup_f32 v7, v14, v28, v15
	v_fma_f32 v13, -v40, v21, v30
	v_add_f32_e32 v5, v5, v12
	v_div_fixup_f32 v12, v20, v17, v22
	v_add_f32_e32 v11, v11, v16
	v_add_f32_e32 v6, v7, v6
	v_div_fmas_f32 v13, v13, v36, v21
	v_cmp_lt_f32_e32 vcc_lo, v10, v4
	v_div_fixup_f32 v2, v13, v17, v2
	v_cndmask_b32_e32 v10, v10, v4, vcc_lo
	v_add_f32_e32 v13, v12, v5
	v_mov_b32_e32 v12, v8
	v_mov_b32_e32 v8, v17
	v_add_f32_e32 v14, v2, v6
.LBB35_43:
	s_or_b32 exec_lo, exec_lo, s19
	s_mov_b32 s0, exec_lo
	v_cmpx_eq_u32_e32 0, v1
	s_cbranch_execz .LBB35_45
; %bb.44:
	v_lshrrev_b32_e32 v2, 5, v0
	v_mul_u32_u24_e32 v2, 28, v2
	ds_write2_b32 v2, v8, v9 offset1:1
	ds_write2_b32 v2, v10, v11 offset0:2 offset1:3
	ds_write2_b32 v2, v12, v13 offset0:4 offset1:5
	ds_write_b32 v2, v14 offset:24
.LBB35_45:
	s_or_b32 exec_lo, exec_lo, s0
	s_mov_b32 s19, exec_lo
	s_waitcnt lgkmcnt(0)
	s_barrier
	buffer_gl0_inv
	v_cmpx_gt_u32_e32 8, v0
	s_cbranch_execz .LBB35_53
; %bb.46:
	v_mul_u32_u24_e32 v4, 28, v1
	v_and_b32_e32 v2, 7, v1
	s_add_i32 s5, s5, 31
	ds_read2_b32 v[8:9], v4 offset1:1
	ds_read2_b32 v[10:11], v4 offset0:2 offset1:3
	ds_read2_b32 v[12:13], v4 offset0:4 offset1:5
	ds_read_b32 v14, v4 offset:24
	v_cmp_ne_u32_e32 vcc_lo, 7, v2
	s_lshr_b32 s5, s5, 5
	v_add_co_ci_u32_e64 v4, null, 0, v1, vcc_lo
	v_lshlrev_b32_e32 v4, 2, v4
	s_waitcnt lgkmcnt(3)
	ds_bpermute_b32 v15, v4, v8
	ds_bpermute_b32 v19, v4, v9
	s_waitcnt lgkmcnt(4)
	ds_bpermute_b32 v5, v4, v10
	ds_bpermute_b32 v20, v4, v11
	;; [unrolled: 3-line block ×3, first 2 shown]
	s_waitcnt lgkmcnt(6)
	ds_bpermute_b32 v7, v4, v14
	v_add_nc_u32_e32 v4, 1, v2
	v_mov_b32_e32 v18, v13
	v_mov_b32_e32 v17, v12
	v_cmp_gt_u32_e32 vcc_lo, s5, v4
	v_mov_b32_e32 v4, v8
	s_and_saveexec_b32 s22, vcc_lo
	s_cbranch_execz .LBB35_48
; %bb.47:
	s_waitcnt lgkmcnt(3)
	v_sub_f32_e32 v17, v20, v11
	v_add_f32_e32 v4, v8, v15
	v_cmp_gt_f32_e32 vcc_lo, v9, v19
	v_mul_f32_e32 v23, v12, v15
	v_mul_f32_e32 v24, v8, v8
	;; [unrolled: 1-line block ×4, first 2 shown]
	v_cndmask_b32_e32 v9, v9, v19, vcc_lo
	v_mul_f32_e32 v30, 0x40400000, v17
	s_waitcnt lgkmcnt(2)
	v_fma_f32 v23, v8, v16, -v23
	v_div_scale_f32 v22, null, v4, v4, v18
	v_mul_f32_e32 v26, v8, v21
	v_div_scale_f32 v35, vcc_lo, v18, v4, v18
	v_rcp_f32_e32 v27, v22
	v_mul_f32_e32 v23, v30, v23
	v_mul_f32_e32 v26, v26, v15
	;; [unrolled: 1-line block ×3, first 2 shown]
	v_sub_f32_e32 v20, v8, v15
	v_fma_f32 v32, -v8, v15, v24
	v_add_f32_e32 v19, v12, v16
	v_div_scale_f32 v33, null, v4, v4, v26
	v_mul_f32_e32 v31, v8, v28
	v_fma_f32 v34, -v22, v27, 1.0
	v_mul_f32_e32 v28, v17, v28
	v_rcp_f32_e32 v36, v33
	v_mul_f32_e32 v25, v15, v15
	v_mul_f32_e32 v31, v31, v15
	v_fmac_f32_e32 v27, v34, v27
	v_mul_f32_e32 v28, v8, v28
	v_mul_f32_e32 v29, v4, v4
	;; [unrolled: 1-line block ×5, first 2 shown]
	v_fmac_f32_e32 v32, v15, v15
	v_fma_f32 v34, -v33, v36, 1.0
	v_mul_f32_e32 v28, v28, v15
	v_mul_f32_e32 v24, v4, v29
	v_fma_f32 v37, -v22, v30, v35
	v_div_scale_f32 v31, null, v29, v29, v20
	v_fmac_f32_e32 v36, v34, v36
	v_div_scale_f32 v34, null, v4, v4, v23
	v_fmac_f32_e32 v30, v37, v27
	v_mul_f32_e32 v28, v32, v28
	v_mul_f32_e32 v21, 0x40c00000, v21
	v_fmac_f32_e32 v16, v12, v25
	v_rcp_f32_e32 v38, v31
	v_fma_f32 v22, -v22, v30, v35
	v_div_scale_f32 v39, s0, v26, v4, v26
	v_mul_f32_e32 v16, v21, v16
	v_mul_f32_e32 v15, v13, v15
	v_div_fmas_f32 v22, v22, v27, v30
	v_rcp_f32_e32 v27, v34
	v_mul_f32_e32 v35, v39, v36
	v_mul_f32_e32 v17, 4.0, v17
	v_fma_f32 v37, -v31, v38, 1.0
	v_div_fixup_f32 v22, v22, v4, v18
	v_div_scale_f32 v18, null, v24, v24, v28
	s_waitcnt lgkmcnt(1)
	v_fma_f32 v8, v8, v6, -v15
	v_fma_f32 v30, -v33, v35, v39
	v_fmac_f32_e32 v38, v37, v38
	v_fma_f32 v25, -v34, v27, 1.0
	v_rcp_f32_e32 v32, v18
	v_div_scale_f32 v12, s1, v20, v29, v20
	v_mul_f32_e32 v8, v17, v8
	v_fmac_f32_e32 v27, v25, v27
	v_div_scale_f32 v25, null, v29, v29, v16
	v_fmac_f32_e32 v35, v30, v36
	v_mul_f32_e32 v21, v12, v38
	v_div_scale_f32 v41, null, v4, v4, v8
	v_rcp_f32_e32 v40, v25
	v_fma_f32 v37, -v18, v32, 1.0
	v_div_scale_f32 v30, s2, v23, v4, v23
	v_fma_f32 v15, -v33, v35, v39
	v_fma_f32 v33, -v31, v21, v12
	v_fmac_f32_e32 v32, v37, v32
	v_div_scale_f32 v17, s3, v28, v24, v28
	v_mul_f32_e32 v39, v30, v27
	v_fma_f32 v37, -v25, v40, 1.0
	v_fmac_f32_e32 v21, v33, v38
	v_mul_f32_e32 v42, v17, v32
	s_mov_b32 vcc_lo, s0
	v_fma_f32 v33, -v34, v39, v30
	v_fmac_f32_e32 v40, v37, v40
	v_rcp_f32_e32 v37, v41
	v_div_scale_f32 v43, s4, v16, v29, v16
	v_div_fmas_f32 v15, v15, v36, v35
	v_fma_f32 v12, -v31, v21, v12
	v_fma_f32 v31, -v18, v42, v17
	v_fmac_f32_e32 v39, v33, v27
	v_mul_f32_e32 v33, v43, v40
	s_mov_b32 vcc_lo, s1
	s_waitcnt lgkmcnt(0)
	v_add_f32_e32 v7, v14, v7
	v_fma_f32 v35, -v41, v37, 1.0
	v_fmac_f32_e32 v42, v31, v32
	v_div_scale_f32 v31, s0, v8, v4, v8
	v_div_fmas_f32 v12, v12, v38, v21
	v_fmac_f32_e32 v37, v35, v37
	v_fma_f32 v21, -v34, v39, v30
	v_fma_f32 v30, -v25, v33, v43
	;; [unrolled: 1-line block ×3, first 2 shown]
	s_mov_b32 vcc_lo, s2
	v_mul_f32_e32 v18, v31, v37
	v_div_fmas_f32 v21, v21, v27, v39
	v_fmac_f32_e32 v33, v30, v40
	s_mov_b32 vcc_lo, s3
	v_add_f32_e32 v6, v13, v6
	v_fma_f32 v27, -v41, v18, v31
	v_div_fmas_f32 v17, v17, v32, v42
	v_fma_f32 v14, -v25, v33, v43
	s_mov_b32 vcc_lo, s4
	v_div_fixup_f32 v12, v12, v29, v20
	v_fmac_f32_e32 v18, v27, v37
	v_div_fixup_f32 v17, v17, v24, v28
	v_div_fmas_f32 v14, v14, v40, v33
	s_mov_b32 vcc_lo, s0
	v_div_fixup_f32 v15, v15, v4, v26
	v_fma_f32 v13, -v41, v18, v31
	v_add_f32_e32 v7, v7, v17
	v_div_fixup_f32 v14, v14, v29, v16
	v_add_f32_e32 v6, v6, v12
	v_div_fixup_f32 v12, v21, v4, v23
	v_div_fmas_f32 v13, v13, v37, v18
	v_add_f32_e32 v17, v19, v15
	v_add_f32_e32 v7, v14, v7
	v_cmp_lt_f32_e32 vcc_lo, v10, v5
	v_add_f32_e32 v18, v12, v6
	v_div_fixup_f32 v8, v13, v4, v8
	v_add_f32_e32 v11, v11, v22
	v_mov_b32_e32 v12, v17
	v_cndmask_b32_e32 v10, v10, v5, vcc_lo
	v_mov_b32_e32 v13, v18
	v_add_f32_e32 v14, v8, v7
	v_mov_b32_e32 v8, v4
.LBB35_48:
	s_or_b32 exec_lo, exec_lo, s22
	v_cmp_gt_u32_e32 vcc_lo, 6, v2
	s_waitcnt lgkmcnt(3)
	v_add_nc_u32_e32 v20, 2, v2
	s_mov_b32 s22, exec_lo
	v_cndmask_b32_e64 v5, 0, 2, vcc_lo
	s_waitcnt lgkmcnt(1)
	v_add_lshl_u32 v6, v5, v1, 2
	s_waitcnt lgkmcnt(0)
	ds_bpermute_b32 v7, v6, v4
	ds_bpermute_b32 v16, v6, v9
	;; [unrolled: 1-line block ×7, first 2 shown]
	v_cmpx_gt_u32_e64 s5, v20
	s_cbranch_execz .LBB35_50
; %bb.49:
	s_waitcnt lgkmcnt(3)
	v_sub_f32_e32 v17, v19, v11
	v_cmp_gt_f32_e32 vcc_lo, v9, v16
	v_add_f32_e32 v4, v8, v7
	v_mul_f32_e32 v22, v12, v7
	v_mul_f32_e32 v23, v8, v8
	;; [unrolled: 1-line block ×3, first 2 shown]
	v_cndmask_b32_e32 v9, v9, v16, vcc_lo
	v_mul_f32_e32 v16, v17, v7
	v_mul_f32_e32 v29, 0x40400000, v17
	s_waitcnt lgkmcnt(2)
	v_fma_f32 v22, v8, v15, -v22
	v_mul_f32_e32 v25, v8, v20
	v_mul_f32_e32 v27, v17, v20
	v_div_scale_f32 v21, null, v4, v4, v16
	v_div_scale_f32 v34, vcc_lo, v16, v4, v16
	v_mul_f32_e32 v25, v25, v7
	v_rcp_f32_e32 v26, v21
	v_mul_f32_e32 v22, v29, v22
	v_mul_f32_e32 v30, v8, v27
	;; [unrolled: 1-line block ×3, first 2 shown]
	v_div_scale_f32 v32, null, v4, v4, v25
	v_sub_f32_e32 v19, v8, v7
	v_fma_f32 v31, -v8, v7, v23
	v_mul_f32_e32 v30, v30, v7
	v_rcp_f32_e32 v35, v32
	v_fma_f32 v33, -v21, v26, 1.0
	v_mul_f32_e32 v27, v8, v27
	v_add_f32_e32 v18, v12, v15
	v_mul_f32_e32 v24, v7, v7
	v_mul_f32_e32 v28, v4, v4
	v_fmac_f32_e32 v26, v33, v26
	v_mul_f32_e32 v15, v23, v15
	v_mul_f32_e32 v19, v19, v30
	v_fmac_f32_e32 v31, v7, v7
	v_fma_f32 v33, -v32, v35, 1.0
	v_mul_f32_e32 v29, v34, v26
	v_mul_f32_e32 v27, v27, v7
	;; [unrolled: 1-line block ×3, first 2 shown]
	v_div_scale_f32 v30, null, v28, v28, v19
	v_fma_f32 v36, -v21, v29, v34
	v_fmac_f32_e32 v35, v33, v35
	v_div_scale_f32 v33, null, v4, v4, v22
	v_mul_f32_e32 v27, v31, v27
	v_fmac_f32_e32 v29, v36, v26
	v_mul_f32_e32 v20, 0x40c00000, v20
	v_fmac_f32_e32 v15, v12, v24
	v_rcp_f32_e32 v37, v30
	v_div_scale_f32 v38, s0, v25, v4, v25
	v_fma_f32 v21, -v21, v29, v34
	v_mul_f32_e32 v15, v20, v15
	v_mul_f32_e32 v7, v13, v7
	v_mul_f32_e32 v34, v38, v35
	v_mul_f32_e32 v17, 4.0, v17
	v_div_fmas_f32 v21, v21, v26, v29
	v_rcp_f32_e32 v26, v33
	v_fma_f32 v36, -v30, v37, 1.0
	s_waitcnt lgkmcnt(1)
	v_fma_f32 v7, v8, v5, -v7
	v_fma_f32 v29, -v32, v34, v38
	v_div_fixup_f32 v16, v21, v4, v16
	v_div_scale_f32 v21, null, v23, v23, v27
	v_fmac_f32_e32 v37, v36, v37
	v_div_scale_f32 v12, s1, v19, v28, v19
	v_fma_f32 v24, -v33, v26, 1.0
	v_rcp_f32_e32 v31, v21
	v_mul_f32_e32 v7, v17, v7
	v_fmac_f32_e32 v34, v29, v35
	v_mul_f32_e32 v20, v12, v37
	v_fmac_f32_e32 v26, v24, v26
	v_div_scale_f32 v24, null, v28, v28, v15
	v_div_scale_f32 v40, null, v4, v4, v7
	v_div_scale_f32 v29, s2, v22, v4, v22
	v_rcp_f32_e32 v39, v24
	v_fma_f32 v36, -v21, v31, 1.0
	v_fma_f32 v8, -v32, v34, v38
	v_fma_f32 v32, -v30, v20, v12
	v_div_scale_f32 v17, s3, v27, v23, v27
	v_fmac_f32_e32 v31, v36, v31
	v_mul_f32_e32 v38, v29, v26
	v_fmac_f32_e32 v20, v32, v37
	s_mov_b32 vcc_lo, s0
	v_fma_f32 v36, -v24, v39, 1.0
	v_mul_f32_e32 v41, v17, v31
	v_fma_f32 v32, -v33, v38, v29
	v_div_scale_f32 v42, s4, v15, v28, v15
	v_fmac_f32_e32 v39, v36, v39
	v_rcp_f32_e32 v36, v40
	v_div_fmas_f32 v8, v8, v35, v34
	v_fma_f32 v12, -v30, v20, v12
	v_fma_f32 v30, -v21, v41, v17
	v_fmac_f32_e32 v38, v32, v26
	v_mul_f32_e32 v32, v42, v39
	s_mov_b32 vcc_lo, s1
	s_waitcnt lgkmcnt(0)
	v_add_f32_e32 v6, v14, v6
	v_fmac_f32_e32 v41, v30, v31
	v_div_scale_f32 v30, s0, v7, v4, v7
	v_fma_f32 v34, -v40, v36, 1.0
	v_div_fmas_f32 v12, v12, v37, v20
	v_fma_f32 v20, -v33, v38, v29
	v_fma_f32 v29, -v24, v32, v42
	;; [unrolled: 1-line block ×3, first 2 shown]
	v_fmac_f32_e32 v36, v34, v36
	s_mov_b32 vcc_lo, s2
	v_div_fixup_f32 v8, v8, v4, v25
	v_div_fmas_f32 v20, v20, v26, v38
	v_fmac_f32_e32 v32, v29, v39
	v_mul_f32_e32 v21, v30, v36
	s_mov_b32 vcc_lo, s3
	v_add_f32_e32 v5, v13, v5
	v_div_fmas_f32 v17, v17, v31, v41
	v_fma_f32 v14, -v24, v32, v42
	v_fma_f32 v26, -v40, v21, v30
	s_mov_b32 vcc_lo, s4
	v_div_fixup_f32 v12, v12, v28, v19
	v_div_fixup_f32 v17, v17, v23, v27
	v_div_fmas_f32 v14, v14, v39, v32
	v_fmac_f32_e32 v21, v26, v36
	s_mov_b32 vcc_lo, s0
	v_add_f32_e32 v5, v5, v12
	v_add_f32_e32 v6, v6, v17
	v_div_fixup_f32 v14, v14, v28, v15
	v_fma_f32 v13, -v40, v21, v30
	v_add_f32_e32 v17, v18, v8
	v_div_fixup_f32 v8, v20, v4, v22
	v_add_f32_e32 v11, v11, v16
	v_add_f32_e32 v6, v14, v6
	v_div_fmas_f32 v13, v13, v36, v21
	v_cmp_lt_f32_e32 vcc_lo, v10, v1
	v_add_f32_e32 v18, v8, v5
	v_mov_b32_e32 v12, v17
	v_mov_b32_e32 v8, v4
	v_div_fixup_f32 v7, v13, v4, v7
	v_cndmask_b32_e32 v10, v10, v1, vcc_lo
	v_mov_b32_e32 v13, v18
	v_add_f32_e32 v14, v7, v6
.LBB35_50:
	s_or_b32 exec_lo, exec_lo, s22
	s_waitcnt lgkmcnt(5)
	v_or_b32_e32 v16, 16, v3
	v_add_nc_u32_e32 v2, 4, v2
	s_mov_b32 s4, exec_lo
	s_waitcnt lgkmcnt(0)
	ds_bpermute_b32 v6, v16, v4
	ds_bpermute_b32 v7, v16, v9
	;; [unrolled: 1-line block ×7, first 2 shown]
	v_cmpx_gt_u32_e64 s5, v2
	s_cbranch_execz .LBB35_52
; %bb.51:
	s_waitcnt lgkmcnt(3)
	v_sub_f32_e32 v2, v15, v11
	v_add_f32_e32 v15, v8, v6
	v_cmp_gt_f32_e32 vcc_lo, v9, v7
	v_mul_f32_e32 v18, v12, v6
	v_mul_f32_e32 v19, v8, v8
	;; [unrolled: 1-line block ×4, first 2 shown]
	v_cndmask_b32_e32 v9, v9, v7, vcc_lo
	v_sub_f32_e32 v7, v8, v6
	v_mul_f32_e32 v23, v15, v15
	v_div_scale_f32 v20, null, v15, v15, v16
	v_mul_f32_e32 v21, v8, v17
	v_mul_f32_e32 v24, v2, v17
	v_div_scale_f32 v32, vcc_lo, v16, v15, v16
	v_rcp_f32_e32 v25, v20
	v_mul_f32_e32 v21, v21, v6
	v_mul_f32_e32 v27, v8, v24
	;; [unrolled: 1-line block ×3, first 2 shown]
	s_waitcnt lgkmcnt(2)
	v_fma_f32 v18, v8, v3, -v18
	v_mul_f32_e32 v24, v2, v24
	v_div_scale_f32 v28, null, v15, v15, v21
	v_mul_f32_e32 v27, v27, v6
	v_fma_f32 v29, -v8, v6, v19
	v_fma_f32 v30, -v20, v25, 1.0
	v_rcp_f32_e32 v31, v28
	v_mul_f32_e32 v18, v26, v18
	v_mul_f32_e32 v7, v7, v27
	;; [unrolled: 1-line block ×3, first 2 shown]
	v_fmac_f32_e32 v25, v30, v25
	v_div_scale_f32 v35, s0, v21, v15, v21
	v_div_scale_f32 v30, null, v23, v23, v7
	v_mul_f32_e32 v33, v32, v25
	v_fma_f32 v34, -v28, v31, 1.0
	v_fmac_f32_e32 v29, v6, v6
	v_rcp_f32_e32 v36, v30
	v_mul_f32_e32 v24, v24, v6
	v_fma_f32 v37, -v20, v33, v32
	v_fmac_f32_e32 v31, v34, v31
	v_div_scale_f32 v34, null, v15, v15, v18
	v_mul_f32_e32 v22, v6, v6
	v_fmac_f32_e32 v33, v37, v25
	v_mul_f32_e32 v19, v19, v3
	v_mul_f32_e32 v27, v15, v23
	;; [unrolled: 1-line block ×4, first 2 shown]
	v_fma_f32 v20, -v20, v33, v32
	v_fma_f32 v32, -v30, v36, 1.0
	v_mul_f32_e32 v17, 0x40c00000, v17
	v_fma_f32 v37, -v28, v26, v35
	v_fmac_f32_e32 v19, v12, v22
	v_div_fmas_f32 v20, v20, v25, v33
	v_rcp_f32_e32 v25, v34
	v_mul_f32_e32 v6, v13, v6
	v_fmac_f32_e32 v36, v32, v36
	v_fmac_f32_e32 v26, v37, v31
	v_div_fixup_f32 v16, v20, v15, v16
	v_div_scale_f32 v20, null, v27, v27, v24
	v_mul_f32_e32 v17, v17, v19
	v_mul_f32_e32 v2, 4.0, v2
	s_waitcnt lgkmcnt(1)
	v_fma_f32 v6, v8, v5, -v6
	v_fma_f32 v29, -v34, v25, 1.0
	v_rcp_f32_e32 v32, v20
	v_div_scale_f32 v22, s1, v7, v23, v7
	v_fma_f32 v19, -v28, v26, v35
	v_fmac_f32_e32 v25, v29, v25
	v_div_scale_f32 v29, null, v23, v23, v17
	v_mul_f32_e32 v2, v2, v6
	s_mov_b32 vcc_lo, s0
	v_mul_f32_e32 v28, v22, v36
	v_div_scale_f32 v33, s2, v18, v15, v18
	v_fma_f32 v35, -v20, v32, 1.0
	v_rcp_f32_e32 v8, v29
	v_div_fmas_f32 v19, v19, v31, v26
	v_div_scale_f32 v31, null, v15, v15, v2
	v_fma_f32 v6, -v30, v28, v22
	v_mul_f32_e32 v26, v33, v25
	v_fmac_f32_e32 v32, v35, v32
	v_div_scale_f32 v35, s0, v24, v27, v24
	v_rcp_f32_e32 v38, v31
	v_fma_f32 v37, -v29, v8, 1.0
	v_fmac_f32_e32 v28, v6, v36
	v_fma_f32 v6, -v34, v26, v33
	v_mul_f32_e32 v39, v35, v32
	v_add_f32_e32 v5, v13, v5
	v_fmac_f32_e32 v8, v37, v8
	v_div_scale_f32 v37, s3, v17, v23, v17
	v_fma_f32 v13, -v30, v28, v22
	v_fmac_f32_e32 v26, v6, v25
	v_fma_f32 v6, -v20, v39, v35
	v_fma_f32 v30, -v31, v38, 1.0
	s_mov_b32 vcc_lo, s1
	v_mul_f32_e32 v22, v37, v8
	v_div_fmas_f32 v13, v13, v36, v28
	v_fma_f32 v28, -v34, v26, v33
	v_fmac_f32_e32 v39, v6, v32
	v_fmac_f32_e32 v38, v30, v38
	v_div_scale_f32 v30, s1, v2, v15, v2
	s_mov_b32 vcc_lo, s2
	v_fma_f32 v6, -v29, v22, v37
	v_div_fmas_f32 v25, v28, v25, v26
	v_fma_f32 v20, -v20, v39, v35
	v_mul_f32_e32 v26, v30, v38
	s_mov_b32 vcc_lo, s0
	v_fmac_f32_e32 v22, v6, v8
	v_div_fixup_f32 v7, v13, v23, v7
	v_div_fmas_f32 v6, v20, v32, v39
	v_fma_f32 v20, -v31, v26, v30
	s_mov_b32 vcc_lo, s3
	v_fma_f32 v13, -v29, v22, v37
	s_waitcnt lgkmcnt(0)
	v_add_f32_e32 v4, v14, v4
	v_div_fixup_f32 v6, v6, v27, v24
	v_fmac_f32_e32 v26, v20, v38
	v_add_f32_e32 v5, v5, v7
	v_div_fmas_f32 v8, v13, v8, v22
	s_mov_b32 vcc_lo, s1
	v_add_f32_e32 v4, v4, v6
	v_fma_f32 v13, -v31, v26, v30
	v_div_fixup_f32 v7, v25, v15, v18
	v_div_fixup_f32 v6, v8, v23, v17
	v_add_f32_e32 v3, v12, v3
	v_div_fixup_f32 v12, v19, v15, v21
	v_div_fmas_f32 v8, v13, v38, v26
	v_cmp_lt_f32_e32 vcc_lo, v10, v1
	v_add_f32_e32 v4, v6, v4
	v_add_f32_e32 v13, v7, v5
	;; [unrolled: 1-line block ×3, first 2 shown]
	v_div_fixup_f32 v2, v8, v15, v2
	v_cndmask_b32_e32 v10, v10, v1, vcc_lo
	v_add_f32_e32 v11, v11, v16
	v_mov_b32_e32 v8, v15
	v_add_f32_e32 v14, v2, v4
.LBB35_52:
	s_or_b32 exec_lo, exec_lo, s4
.LBB35_53:
	s_or_b32 exec_lo, exec_lo, s19
.LBB35_54:
	s_mov_b32 s19, 0
                                        ; implicit-def: $vgpr7
                                        ; implicit-def: $vgpr4
	s_mov_b32 s0, exec_lo
	v_cmpx_eq_u32_e32 0, v0
	s_xor_b32 s5, exec_lo, s0
	s_cbranch_execz .LBB35_58
; %bb.55:
	s_waitcnt lgkmcnt(5)
	v_mov_b32_e32 v7, s18
	v_mov_b32_e32 v6, s17
	s_waitcnt lgkmcnt(1)
	v_mov_b32_e32 v5, s16
	s_waitcnt lgkmcnt(0)
	v_mov_b32_e32 v4, s15
	v_mov_b32_e32 v3, s14
	;; [unrolled: 1-line block ×4, first 2 shown]
	s_cmp_eq_u64 s[8:9], 0
	s_cbranch_scc1 .LBB35_57
; %bb.56:
	v_subrev_f32_e32 v3, s15, v11
	v_add_f32_e32 v1, s12, v8
	v_cmp_gt_f32_e32 vcc_lo, s13, v9
	v_mul_f32_e32 v6, s16, v8
	v_mul_f32_e64 v11, s12, s12
	v_mul_f32_e32 v4, v3, v8
	v_mul_f32_e32 v7, v3, v3
	v_cndmask_b32_e32 v2, s13, v9, vcc_lo
	v_mul_f32_e32 v20, 0x40400000, v3
	v_fma_f32 v6, s12, v12, -v6
	v_div_scale_f32 v9, null, v1, v1, v4
	v_mul_f32_e32 v16, s12, v7
	v_div_scale_f32 v25, vcc_lo, v4, v1, v4
	v_rcp_f32_e32 v18, v9
	v_mul_f32_e32 v17, v3, v7
	v_mul_f32_e32 v16, v8, v16
	v_mul_f32_e32 v6, v20, v6
	v_sub_f32_e32 v5, s12, v8
	v_mul_f32_e32 v15, v8, v8
	v_mul_f32_e32 v21, s12, v17
	v_div_scale_f32 v23, null, v1, v1, v16
	v_mul_f32_e32 v17, v3, v17
	v_fma_f32 v24, -v9, v18, 1.0
	v_fma_f32 v22, -s12, v8, v11
	v_rcp_f32_e32 v26, v23
	v_mul_f32_e32 v21, v8, v21
	v_mul_f32_e32 v17, s12, v17
	v_fmac_f32_e32 v18, v24, v18
	v_mul_f32_e32 v19, v1, v1
	v_fmac_f32_e32 v22, v8, v8
	v_mul_f32_e32 v5, v5, v21
	v_mul_f32_e32 v17, v8, v17
	;; [unrolled: 1-line block ×4, first 2 shown]
	v_fma_f32 v27, -v23, v26, 1.0
	v_mul_f32_e32 v21, v1, v19
	v_div_scale_f32 v20, null, v19, v19, v5
	v_fma_f32 v29, -v9, v24, v25
	v_fmac_f32_e32 v26, v27, v26
	v_div_scale_f32 v27, null, v1, v1, v6
	v_mul_f32_e32 v17, v22, v17
	v_fmac_f32_e32 v24, v29, v18
	v_mul_f32_e32 v7, 0x40c00000, v7
	v_fmac_f32_e32 v15, v11, v12
	v_rcp_f32_e32 v28, v20
	v_div_scale_f32 v30, s0, v16, v1, v16
	v_fma_f32 v9, -v9, v24, v25
	v_rcp_f32_e32 v25, v27
	v_mul_f32_e32 v7, v7, v15
	v_mul_f32_e32 v8, s17, v8
	;; [unrolled: 1-line block ×3, first 2 shown]
	v_div_fmas_f32 v9, v9, v18, v24
	v_div_scale_f32 v18, null, v21, v21, v17
	v_fma_f32 v31, -v20, v28, 1.0
	v_mul_f32_e32 v3, 4.0, v3
	v_fma_f32 v8, s12, v13, -v8
	v_fma_f32 v11, -v27, v25, 1.0
	v_rcp_f32_e32 v24, v18
	v_fma_f32 v22, -v23, v29, v30
	v_fmac_f32_e32 v28, v31, v28
	v_div_fixup_f32 v4, v9, v1, v4
	v_fmac_f32_e32 v25, v11, v25
	v_div_scale_f32 v11, null, v19, v19, v7
	v_div_scale_f32 v9, s1, v5, v19, v5
	v_mul_f32_e32 v3, v3, v8
	v_rcp_f32_e32 v32, v11
	v_fma_f32 v31, -v18, v24, 1.0
	v_fmac_f32_e32 v29, v22, v26
	v_mul_f32_e32 v15, v9, v28
	v_div_scale_f32 v22, s2, v6, v1, v6
	v_fmac_f32_e32 v24, v31, v24
	v_div_scale_f32 v34, null, v1, v1, v3
	v_fma_f32 v23, -v23, v29, v30
	v_fma_f32 v31, -v11, v32, 1.0
	v_fma_f32 v30, -v20, v15, v9
	v_mul_f32_e32 v33, v22, v25
	v_div_scale_f32 v8, s3, v17, v21, v17
	v_fmac_f32_e32 v32, v31, v32
	v_rcp_f32_e32 v31, v34
	v_fmac_f32_e32 v15, v30, v28
	v_fma_f32 v30, -v27, v33, v22
	v_mul_f32_e32 v35, v8, v24
	s_mov_b32 vcc_lo, s0
	v_div_scale_f32 v36, s4, v7, v19, v7
	v_div_fmas_f32 v23, v23, v26, v29
	v_fma_f32 v9, -v20, v15, v9
	v_fmac_f32_e32 v33, v30, v25
	v_fma_f32 v20, -v18, v35, v8
	v_fma_f32 v29, -v34, v31, 1.0
	s_mov_b32 vcc_lo, s1
	v_mul_f32_e32 v26, v36, v32
	v_div_fmas_f32 v9, v9, v28, v15
	v_fma_f32 v15, -v27, v33, v22
	v_fmac_f32_e32 v35, v20, v24
	v_fmac_f32_e32 v31, v29, v31
	v_div_scale_f32 v22, s0, v3, v1, v3
	v_fma_f32 v20, -v11, v26, v36
	v_fma_f32 v8, -v18, v35, v8
	s_mov_b32 vcc_lo, s2
	v_mul_f32_e32 v18, v22, v31
	v_div_fmas_f32 v15, v15, v25, v33
	v_fmac_f32_e32 v26, v20, v32
	s_mov_b32 vcc_lo, s3
	v_add_f32_e32 v14, s18, v14
	v_fma_f32 v20, -v34, v18, v22
	v_div_fmas_f32 v8, v8, v24, v35
	v_fma_f32 v11, -v11, v26, v36
	s_mov_b32 vcc_lo, s4
	v_div_fixup_f32 v5, v9, v19, v5
	v_fmac_f32_e32 v18, v20, v31
	v_div_fixup_f32 v8, v8, v21, v17
	v_div_fmas_f32 v11, v11, v32, v26
	s_mov_b32 vcc_lo, s0
	v_add_f32_e32 v13, s17, v13
	v_fma_f32 v9, -v34, v18, v22
	v_add_f32_e32 v8, v14, v8
	v_div_fixup_f32 v7, v11, v19, v7
	v_add_f32_e32 v12, s16, v12
	v_div_fixup_f32 v11, v23, v1, v16
	v_div_fmas_f32 v9, v9, v31, v18
	v_add_f32_e32 v13, v13, v5
	v_div_fixup_f32 v6, v15, v1, v6
	v_add_f32_e32 v7, v7, v8
	v_cmp_lt_f32_e32 vcc_lo, s14, v10
	v_div_fixup_f32 v8, v9, v1, v3
	v_add_f32_e32 v4, s15, v4
	v_add_f32_e32 v5, v12, v11
	;; [unrolled: 1-line block ×3, first 2 shown]
	v_cndmask_b32_e32 v3, s14, v10, vcc_lo
	v_add_f32_e32 v7, v8, v7
.LBB35_57:
	s_mov_b32 s19, exec_lo
.LBB35_58:
	s_or_b32 exec_lo, exec_lo, s5
	s_and_b32 vcc_lo, exec_lo, s27
	s_cbranch_vccnz .LBB35_12
.LBB35_59:
	s_branch .LBB35_99
.LBB35_60:
                                        ; implicit-def: $vgpr8
                                        ; implicit-def: $vgpr10
                                        ; implicit-def: $vgpr12
                                        ; implicit-def: $vgpr14
	s_cbranch_execz .LBB35_86
; %bb.61:
	s_sub_i32 s0, s8, s24
	s_mov_b32 s1, exec_lo
                                        ; implicit-def: $vgpr11
	v_cmpx_gt_u32_e64 s0, v0
	s_cbranch_execz .LBB35_63
; %bb.62:
	s_waitcnt lgkmcnt(4)
	v_lshlrev_b32_e32 v1, 2, v0
	global_load_dword v11, v1, s[22:23]
.LBB35_63:
	s_or_b32 exec_lo, exec_lo, s1
	s_waitcnt lgkmcnt(4)
	v_or_b32_e32 v1, 0x100, v0
	v_mov_b32_e32 v8, 1.0
	v_mov_b32_e32 v14, 0
	v_mov_b32_e32 v13, 0
	;; [unrolled: 1-line block ×3, first 2 shown]
	s_waitcnt vmcnt(0)
	v_mov_b32_e32 v10, v11
	v_mov_b32_e32 v9, v11
	s_mov_b32 s1, exec_lo
	v_cmpx_gt_u32_e64 s0, v1
	s_cbranch_execz .LBB35_65
; %bb.64:
	v_lshlrev_b32_e32 v1, 2, v0
	s_waitcnt lgkmcnt(1)
	v_mov_b32_e32 v5, 0
	global_load_dword v1, v1, s[22:23] offset:1024
	s_waitcnt vmcnt(0)
	v_sub_f32_e32 v2, v1, v11
	v_cmp_lt_f32_e32 vcc_lo, v1, v11
	v_mul_f32_e32 v3, v2, v2
	v_mul_f32_e32 v8, 0x40400000, v2
	v_mul_f32_e32 v10, 4.0, v2
	v_cndmask_b32_e32 v9, v11, v1, vcc_lo
	v_cmp_lt_f32_e32 vcc_lo, v11, v1
	s_waitcnt lgkmcnt(0)
	v_mul_f32_e32 v4, v2, v3
	v_mul_f32_e32 v6, 0x40c00000, v3
	v_fma_f32 v12, v3, 0.5, 0
	v_mul_f32_e32 v7, v2, v4
	v_mul_f32_e32 v4, 0, v4
	;; [unrolled: 1-line block ×3, first 2 shown]
	v_fmamk_f32 v14, v7, 0x3e000000, v5
	v_mul_f32_e32 v5, 0, v8
	v_mul_f32_e32 v7, 0, v10
	v_fma_f32 v13, 0x3e800000, v4, 0
	v_cndmask_b32_e32 v10, v11, v1, vcc_lo
	v_fmac_f32_e32 v14, 0x3e800000, v6
	v_fmac_f32_e32 v11, 0.5, v2
	v_mov_b32_e32 v8, 2.0
	v_fmac_f32_e32 v13, 0.5, v5
	v_fmac_f32_e32 v14, 0.5, v7
.LBB35_65:
	s_or_b32 exec_lo, exec_lo, s1
	v_mbcnt_lo_u32_b32 v1, -1, 0
	s_min_u32 s4, s0, 0x100
	s_mov_b32 s0, exec_lo
	v_cmp_ne_u32_e32 vcc_lo, 31, v1
	v_add_nc_u32_e32 v17, 1, v1
	v_add_co_ci_u32_e64 v2, null, 0, v1, vcc_lo
	v_lshlrev_b32_e32 v2, 2, v2
	ds_bpermute_b32 v6, v2, v8
	s_waitcnt lgkmcnt(4)
	ds_bpermute_b32 v15, v2, v9
	s_waitcnt lgkmcnt(4)
	ds_bpermute_b32 v3, v2, v10
	ds_bpermute_b32 v16, v2, v11
	;; [unrolled: 1-line block ×3, first 2 shown]
	s_waitcnt lgkmcnt(6)
	ds_bpermute_b32 v5, v2, v13
	s_waitcnt lgkmcnt(6)
	ds_bpermute_b32 v4, v2, v14
	v_and_b32_e32 v2, 0xe0, v0
	v_sub_nc_u32_e64 v2, s4, v2 clamp
	v_cmpx_lt_u32_e64 v17, v2
	s_xor_b32 s5, exec_lo, s0
	s_cbranch_execz .LBB35_67
; %bb.66:
	s_waitcnt lgkmcnt(3)
	v_sub_f32_e32 v16, v16, v11
	v_add_f32_e32 v17, v8, v6
	v_cmp_gt_f32_e32 vcc_lo, v9, v15
	v_sub_f32_e32 v20, v8, v6
	v_mul_f32_e32 v21, v12, v6
	v_mul_f32_e32 v18, v16, v6
	;; [unrolled: 1-line block ×3, first 2 shown]
	v_cndmask_b32_e32 v9, v9, v15, vcc_lo
	v_mul_f32_e32 v24, v8, v8
	v_mul_f32_e32 v28, 0x40400000, v16
	v_div_scale_f32 v22, null, v17, v17, v18
	v_mul_f32_e32 v23, v8, v19
	v_mul_f32_e32 v26, v16, v19
	v_div_scale_f32 v35, vcc_lo, v18, v17, v18
	v_rcp_f32_e32 v27, v22
	v_mul_f32_e32 v23, v23, v6
	v_mul_f32_e32 v29, v8, v26
	;; [unrolled: 1-line block ×3, first 2 shown]
	s_waitcnt lgkmcnt(2)
	v_fma_f32 v21, v8, v7, -v21
	v_fma_f32 v31, -v8, v6, v24
	v_div_scale_f32 v30, null, v17, v17, v23
	v_mul_f32_e32 v29, v29, v6
	v_mul_f32_e32 v26, v8, v26
	v_fma_f32 v33, -v22, v27, 1.0
	v_rcp_f32_e32 v34, v30
	v_mul_f32_e32 v25, v17, v17
	v_mul_f32_e32 v20, v20, v29
	;; [unrolled: 1-line block ×3, first 2 shown]
	v_fmac_f32_e32 v27, v33, v27
	v_fmac_f32_e32 v31, v6, v6
	v_mul_f32_e32 v26, v26, v6
	v_mul_f32_e32 v32, v17, v25
	v_div_scale_f32 v28, null, v25, v25, v20
	v_mul_f32_e32 v29, v35, v27
	v_fma_f32 v33, -v30, v34, 1.0
	v_mul_f32_e32 v26, v31, v26
	v_add_f32_e32 v15, v12, v7
	v_div_scale_f32 v36, s0, v23, v17, v23
	v_fma_f32 v38, -v22, v29, v35
	v_fmac_f32_e32 v34, v33, v34
	v_div_scale_f32 v33, null, v17, v17, v21
	v_rcp_f32_e32 v37, v28
	v_fmac_f32_e32 v29, v38, v27
	v_mul_f32_e32 v7, v24, v7
	v_rcp_f32_e32 v39, v33
	v_div_scale_f32 v24, null, v32, v32, v26
	v_fma_f32 v22, -v22, v29, v35
	v_mul_f32_e32 v38, v36, v34
	v_mul_f32_e32 v19, 0x40c00000, v19
	v_mul_f32_e32 v16, 4.0, v16
	v_fma_f32 v40, -v28, v37, 1.0
	v_div_fmas_f32 v22, v22, v27, v29
	v_mul_f32_e32 v27, v6, v6
	v_rcp_f32_e32 v29, v24
	v_mul_f32_e32 v6, v13, v6
	v_fma_f32 v35, -v30, v38, v36
	v_fmac_f32_e32 v37, v40, v37
	v_fmac_f32_e32 v7, v12, v27
	v_fma_f32 v27, -v33, v39, 1.0
	s_waitcnt lgkmcnt(1)
	v_fma_f32 v6, v8, v5, -v6
	v_fmac_f32_e32 v38, v35, v34
	v_div_scale_f32 v12, s1, v20, v25, v20
	v_mul_f32_e32 v7, v19, v7
	v_fmac_f32_e32 v39, v27, v39
	v_fma_f32 v35, -v24, v29, 1.0
	v_mul_f32_e32 v6, v16, v6
	v_fma_f32 v19, -v30, v38, v36
	v_div_scale_f32 v27, null, v25, v25, v7
	v_mul_f32_e32 v30, v12, v37
	v_fmac_f32_e32 v29, v35, v29
	v_div_scale_f32 v35, null, v17, v17, v6
	v_rcp_f32_e32 v8, v27
	v_div_scale_f32 v31, s2, v21, v17, v21
	s_mov_b32 vcc_lo, s0
	v_fma_f32 v16, -v28, v30, v12
	v_div_scale_f32 v36, s0, v26, v32, v26
	v_rcp_f32_e32 v40, v35
	v_div_fmas_f32 v19, v19, v34, v38
	v_mul_f32_e32 v34, v31, v39
	v_fma_f32 v38, -v27, v8, 1.0
	v_fmac_f32_e32 v30, v16, v37
	v_mul_f32_e32 v41, v36, v29
	v_add_f32_e32 v5, v13, v5
	v_fma_f32 v16, -v33, v34, v31
	v_fmac_f32_e32 v8, v38, v8
	v_div_scale_f32 v38, s3, v7, v25, v7
	v_fma_f32 v12, -v28, v30, v12
	v_fma_f32 v13, -v24, v41, v36
	v_fma_f32 v28, -v35, v40, 1.0
	v_fmac_f32_e32 v34, v16, v39
	v_mul_f32_e32 v16, v38, v8
	s_mov_b32 vcc_lo, s1
	v_fmac_f32_e32 v41, v13, v29
	v_fmac_f32_e32 v40, v28, v40
	v_div_scale_f32 v28, s1, v6, v17, v6
	v_div_fmas_f32 v12, v12, v37, v30
	v_fma_f32 v30, -v33, v34, v31
	v_fma_f32 v13, -v27, v16, v38
	;; [unrolled: 1-line block ×3, first 2 shown]
	v_mul_f32_e32 v31, v28, v40
	s_mov_b32 vcc_lo, s2
	v_div_fixup_f32 v12, v12, v25, v20
	v_div_fmas_f32 v30, v30, v39, v34
	s_mov_b32 vcc_lo, s0
	v_fmac_f32_e32 v16, v13, v8
	v_div_fmas_f32 v13, v24, v29, v41
	v_fma_f32 v24, -v35, v31, v28
	s_waitcnt lgkmcnt(0)
	v_add_f32_e32 v4, v14, v4
	s_mov_b32 vcc_lo, s3
	v_fma_f32 v14, -v27, v16, v38
	v_div_fixup_f32 v13, v13, v32, v26
	v_fmac_f32_e32 v31, v24, v40
	v_add_f32_e32 v5, v5, v12
	v_div_fmas_f32 v8, v14, v8, v16
	s_mov_b32 vcc_lo, s1
	v_fma_f32 v12, -v35, v31, v28
	v_div_fixup_f32 v14, v19, v17, v23
	v_add_f32_e32 v4, v4, v13
	v_div_fixup_f32 v7, v8, v25, v7
	v_div_fixup_f32 v13, v22, v17, v18
	v_div_fmas_f32 v8, v12, v40, v31
	v_div_fixup_f32 v12, v30, v17, v21
	v_add_f32_e32 v15, v15, v14
	v_add_f32_e32 v4, v7, v4
	v_cmp_lt_f32_e32 vcc_lo, v10, v3
	v_div_fixup_f32 v6, v8, v17, v6
	v_add_f32_e32 v5, v12, v5
	v_add_f32_e32 v11, v11, v13
	v_mov_b32_e32 v12, v15
	v_cndmask_b32_e32 v10, v10, v3, vcc_lo
	v_add_f32_e32 v14, v6, v4
	v_mov_b32_e32 v13, v5
	v_mov_b32_e32 v8, v17
.LBB35_67:
	s_or_b32 exec_lo, exec_lo, s5
	v_cmp_gt_u32_e32 vcc_lo, 30, v1
	v_add_nc_u32_e32 v17, 2, v1
	s_mov_b32 s5, exec_lo
	s_waitcnt lgkmcnt(4)
	v_cndmask_b32_e64 v3, 0, 2, vcc_lo
	s_waitcnt lgkmcnt(0)
	v_add_lshl_u32 v4, v3, v1, 2
	ds_bpermute_b32 v6, v4, v8
	ds_bpermute_b32 v15, v4, v9
	;; [unrolled: 1-line block ×7, first 2 shown]
	v_cmpx_lt_u32_e64 v17, v2
	s_cbranch_execz .LBB35_69
; %bb.68:
	s_waitcnt lgkmcnt(3)
	v_sub_f32_e32 v16, v16, v11
	v_add_f32_e32 v17, v8, v6
	v_cmp_gt_f32_e32 vcc_lo, v9, v15
	v_sub_f32_e32 v20, v8, v6
	v_mul_f32_e32 v21, v12, v6
	v_mul_f32_e32 v18, v16, v6
	;; [unrolled: 1-line block ×3, first 2 shown]
	v_cndmask_b32_e32 v9, v9, v15, vcc_lo
	v_mul_f32_e32 v24, v8, v8
	v_mul_f32_e32 v28, 0x40400000, v16
	v_div_scale_f32 v22, null, v17, v17, v18
	v_mul_f32_e32 v23, v8, v19
	v_mul_f32_e32 v26, v16, v19
	v_div_scale_f32 v35, vcc_lo, v18, v17, v18
	v_rcp_f32_e32 v27, v22
	v_mul_f32_e32 v23, v23, v6
	v_mul_f32_e32 v29, v8, v26
	;; [unrolled: 1-line block ×3, first 2 shown]
	s_waitcnt lgkmcnt(2)
	v_fma_f32 v21, v8, v7, -v21
	v_fma_f32 v31, -v8, v6, v24
	v_div_scale_f32 v30, null, v17, v17, v23
	v_mul_f32_e32 v29, v29, v6
	v_mul_f32_e32 v26, v8, v26
	v_fma_f32 v33, -v22, v27, 1.0
	v_rcp_f32_e32 v34, v30
	v_mul_f32_e32 v25, v17, v17
	v_mul_f32_e32 v20, v20, v29
	;; [unrolled: 1-line block ×3, first 2 shown]
	v_fmac_f32_e32 v27, v33, v27
	v_fmac_f32_e32 v31, v6, v6
	v_mul_f32_e32 v26, v26, v6
	v_mul_f32_e32 v32, v17, v25
	v_div_scale_f32 v28, null, v25, v25, v20
	v_mul_f32_e32 v29, v35, v27
	v_fma_f32 v33, -v30, v34, 1.0
	v_mul_f32_e32 v26, v31, v26
	v_add_f32_e32 v15, v12, v7
	v_div_scale_f32 v36, s0, v23, v17, v23
	v_fma_f32 v38, -v22, v29, v35
	v_fmac_f32_e32 v34, v33, v34
	v_div_scale_f32 v33, null, v17, v17, v21
	v_rcp_f32_e32 v37, v28
	v_fmac_f32_e32 v29, v38, v27
	v_mul_f32_e32 v7, v24, v7
	v_rcp_f32_e32 v39, v33
	v_div_scale_f32 v24, null, v32, v32, v26
	v_fma_f32 v22, -v22, v29, v35
	v_mul_f32_e32 v38, v36, v34
	v_mul_f32_e32 v19, 0x40c00000, v19
	v_mul_f32_e32 v16, 4.0, v16
	v_fma_f32 v40, -v28, v37, 1.0
	v_div_fmas_f32 v22, v22, v27, v29
	v_mul_f32_e32 v27, v6, v6
	v_rcp_f32_e32 v29, v24
	v_mul_f32_e32 v6, v13, v6
	v_fma_f32 v35, -v30, v38, v36
	v_fmac_f32_e32 v37, v40, v37
	v_fmac_f32_e32 v7, v12, v27
	v_fma_f32 v27, -v33, v39, 1.0
	s_waitcnt lgkmcnt(1)
	v_fma_f32 v6, v8, v5, -v6
	v_fmac_f32_e32 v38, v35, v34
	v_div_scale_f32 v12, s1, v20, v25, v20
	v_mul_f32_e32 v7, v19, v7
	v_fmac_f32_e32 v39, v27, v39
	v_fma_f32 v35, -v24, v29, 1.0
	v_mul_f32_e32 v6, v16, v6
	v_fma_f32 v19, -v30, v38, v36
	v_div_scale_f32 v27, null, v25, v25, v7
	v_mul_f32_e32 v30, v12, v37
	v_fmac_f32_e32 v29, v35, v29
	v_div_scale_f32 v35, null, v17, v17, v6
	v_rcp_f32_e32 v8, v27
	v_div_scale_f32 v31, s2, v21, v17, v21
	s_mov_b32 vcc_lo, s0
	v_fma_f32 v16, -v28, v30, v12
	v_div_scale_f32 v36, s0, v26, v32, v26
	v_rcp_f32_e32 v40, v35
	v_div_fmas_f32 v19, v19, v34, v38
	v_mul_f32_e32 v34, v31, v39
	v_fma_f32 v38, -v27, v8, 1.0
	v_fmac_f32_e32 v30, v16, v37
	v_mul_f32_e32 v41, v36, v29
	v_add_f32_e32 v5, v13, v5
	v_fma_f32 v16, -v33, v34, v31
	v_fmac_f32_e32 v8, v38, v8
	v_div_scale_f32 v38, s3, v7, v25, v7
	v_fma_f32 v12, -v28, v30, v12
	v_fma_f32 v13, -v24, v41, v36
	v_fma_f32 v28, -v35, v40, 1.0
	v_fmac_f32_e32 v34, v16, v39
	v_mul_f32_e32 v16, v38, v8
	s_mov_b32 vcc_lo, s1
	v_fmac_f32_e32 v41, v13, v29
	v_fmac_f32_e32 v40, v28, v40
	v_div_scale_f32 v28, s1, v6, v17, v6
	v_div_fmas_f32 v12, v12, v37, v30
	v_fma_f32 v30, -v33, v34, v31
	v_fma_f32 v13, -v27, v16, v38
	;; [unrolled: 1-line block ×3, first 2 shown]
	v_mul_f32_e32 v31, v28, v40
	s_mov_b32 vcc_lo, s2
	v_div_fixup_f32 v12, v12, v25, v20
	v_div_fmas_f32 v30, v30, v39, v34
	s_mov_b32 vcc_lo, s0
	v_fmac_f32_e32 v16, v13, v8
	v_div_fmas_f32 v13, v24, v29, v41
	v_fma_f32 v24, -v35, v31, v28
	s_waitcnt lgkmcnt(0)
	v_add_f32_e32 v4, v14, v4
	s_mov_b32 vcc_lo, s3
	v_fma_f32 v14, -v27, v16, v38
	v_div_fixup_f32 v13, v13, v32, v26
	v_fmac_f32_e32 v31, v24, v40
	v_add_f32_e32 v5, v5, v12
	v_div_fmas_f32 v8, v14, v8, v16
	s_mov_b32 vcc_lo, s1
	v_fma_f32 v12, -v35, v31, v28
	v_div_fixup_f32 v14, v19, v17, v23
	v_add_f32_e32 v4, v4, v13
	v_div_fixup_f32 v7, v8, v25, v7
	v_div_fixup_f32 v13, v22, v17, v18
	v_div_fmas_f32 v8, v12, v40, v31
	v_div_fixup_f32 v12, v30, v17, v21
	v_add_f32_e32 v15, v15, v14
	v_add_f32_e32 v4, v7, v4
	v_cmp_lt_f32_e32 vcc_lo, v10, v3
	v_div_fixup_f32 v6, v8, v17, v6
	v_add_f32_e32 v5, v12, v5
	v_add_f32_e32 v11, v11, v13
	v_mov_b32_e32 v12, v15
	v_cndmask_b32_e32 v10, v10, v3, vcc_lo
	v_add_f32_e32 v14, v6, v4
	v_mov_b32_e32 v13, v5
	v_mov_b32_e32 v8, v17
.LBB35_69:
	s_or_b32 exec_lo, exec_lo, s5
	v_cmp_gt_u32_e32 vcc_lo, 28, v1
	v_add_nc_u32_e32 v17, 4, v1
	s_mov_b32 s5, exec_lo
	s_waitcnt lgkmcnt(4)
	v_cndmask_b32_e64 v3, 0, 4, vcc_lo
	s_waitcnt lgkmcnt(0)
	v_add_lshl_u32 v4, v3, v1, 2
	ds_bpermute_b32 v6, v4, v8
	ds_bpermute_b32 v15, v4, v9
	;; [unrolled: 1-line block ×7, first 2 shown]
	v_cmpx_lt_u32_e64 v17, v2
	s_cbranch_execz .LBB35_71
; %bb.70:
	s_waitcnt lgkmcnt(3)
	v_sub_f32_e32 v16, v16, v11
	v_add_f32_e32 v17, v8, v6
	v_cmp_gt_f32_e32 vcc_lo, v9, v15
	v_sub_f32_e32 v20, v8, v6
	v_mul_f32_e32 v21, v12, v6
	v_mul_f32_e32 v18, v16, v6
	;; [unrolled: 1-line block ×3, first 2 shown]
	v_cndmask_b32_e32 v9, v9, v15, vcc_lo
	v_mul_f32_e32 v24, v8, v8
	v_mul_f32_e32 v28, 0x40400000, v16
	v_div_scale_f32 v22, null, v17, v17, v18
	v_mul_f32_e32 v23, v8, v19
	v_mul_f32_e32 v26, v16, v19
	v_div_scale_f32 v35, vcc_lo, v18, v17, v18
	v_rcp_f32_e32 v27, v22
	v_mul_f32_e32 v23, v23, v6
	v_mul_f32_e32 v29, v8, v26
	;; [unrolled: 1-line block ×3, first 2 shown]
	s_waitcnt lgkmcnt(2)
	v_fma_f32 v21, v8, v7, -v21
	v_fma_f32 v31, -v8, v6, v24
	v_div_scale_f32 v30, null, v17, v17, v23
	v_mul_f32_e32 v29, v29, v6
	v_mul_f32_e32 v26, v8, v26
	v_fma_f32 v33, -v22, v27, 1.0
	v_rcp_f32_e32 v34, v30
	v_mul_f32_e32 v25, v17, v17
	v_mul_f32_e32 v20, v20, v29
	;; [unrolled: 1-line block ×3, first 2 shown]
	v_fmac_f32_e32 v27, v33, v27
	v_fmac_f32_e32 v31, v6, v6
	v_mul_f32_e32 v26, v26, v6
	v_mul_f32_e32 v32, v17, v25
	v_div_scale_f32 v28, null, v25, v25, v20
	v_mul_f32_e32 v29, v35, v27
	v_fma_f32 v33, -v30, v34, 1.0
	v_mul_f32_e32 v26, v31, v26
	v_add_f32_e32 v15, v12, v7
	v_div_scale_f32 v36, s0, v23, v17, v23
	v_fma_f32 v38, -v22, v29, v35
	v_fmac_f32_e32 v34, v33, v34
	v_div_scale_f32 v33, null, v17, v17, v21
	v_rcp_f32_e32 v37, v28
	v_fmac_f32_e32 v29, v38, v27
	v_mul_f32_e32 v7, v24, v7
	v_rcp_f32_e32 v39, v33
	v_div_scale_f32 v24, null, v32, v32, v26
	v_fma_f32 v22, -v22, v29, v35
	v_mul_f32_e32 v38, v36, v34
	v_mul_f32_e32 v19, 0x40c00000, v19
	v_mul_f32_e32 v16, 4.0, v16
	v_fma_f32 v40, -v28, v37, 1.0
	v_div_fmas_f32 v22, v22, v27, v29
	v_mul_f32_e32 v27, v6, v6
	v_rcp_f32_e32 v29, v24
	v_mul_f32_e32 v6, v13, v6
	v_fma_f32 v35, -v30, v38, v36
	v_fmac_f32_e32 v37, v40, v37
	v_fmac_f32_e32 v7, v12, v27
	v_fma_f32 v27, -v33, v39, 1.0
	s_waitcnt lgkmcnt(1)
	v_fma_f32 v6, v8, v5, -v6
	v_fmac_f32_e32 v38, v35, v34
	v_div_scale_f32 v12, s1, v20, v25, v20
	v_mul_f32_e32 v7, v19, v7
	v_fmac_f32_e32 v39, v27, v39
	v_fma_f32 v35, -v24, v29, 1.0
	v_mul_f32_e32 v6, v16, v6
	v_fma_f32 v19, -v30, v38, v36
	v_div_scale_f32 v27, null, v25, v25, v7
	v_mul_f32_e32 v30, v12, v37
	v_fmac_f32_e32 v29, v35, v29
	v_div_scale_f32 v35, null, v17, v17, v6
	v_rcp_f32_e32 v8, v27
	v_div_scale_f32 v31, s2, v21, v17, v21
	s_mov_b32 vcc_lo, s0
	v_fma_f32 v16, -v28, v30, v12
	v_div_scale_f32 v36, s0, v26, v32, v26
	v_rcp_f32_e32 v40, v35
	v_div_fmas_f32 v19, v19, v34, v38
	v_mul_f32_e32 v34, v31, v39
	v_fma_f32 v38, -v27, v8, 1.0
	v_fmac_f32_e32 v30, v16, v37
	v_mul_f32_e32 v41, v36, v29
	v_add_f32_e32 v5, v13, v5
	v_fma_f32 v16, -v33, v34, v31
	v_fmac_f32_e32 v8, v38, v8
	v_div_scale_f32 v38, s3, v7, v25, v7
	v_fma_f32 v12, -v28, v30, v12
	v_fma_f32 v13, -v24, v41, v36
	v_fma_f32 v28, -v35, v40, 1.0
	v_fmac_f32_e32 v34, v16, v39
	v_mul_f32_e32 v16, v38, v8
	s_mov_b32 vcc_lo, s1
	v_fmac_f32_e32 v41, v13, v29
	v_fmac_f32_e32 v40, v28, v40
	v_div_scale_f32 v28, s1, v6, v17, v6
	v_div_fmas_f32 v12, v12, v37, v30
	v_fma_f32 v30, -v33, v34, v31
	v_fma_f32 v13, -v27, v16, v38
	v_fma_f32 v24, -v24, v41, v36
	v_mul_f32_e32 v31, v28, v40
	s_mov_b32 vcc_lo, s2
	v_div_fixup_f32 v12, v12, v25, v20
	v_div_fmas_f32 v30, v30, v39, v34
	s_mov_b32 vcc_lo, s0
	v_fmac_f32_e32 v16, v13, v8
	v_div_fmas_f32 v13, v24, v29, v41
	v_fma_f32 v24, -v35, v31, v28
	s_waitcnt lgkmcnt(0)
	v_add_f32_e32 v4, v14, v4
	s_mov_b32 vcc_lo, s3
	v_fma_f32 v14, -v27, v16, v38
	v_div_fixup_f32 v13, v13, v32, v26
	v_fmac_f32_e32 v31, v24, v40
	v_add_f32_e32 v5, v5, v12
	v_div_fmas_f32 v8, v14, v8, v16
	s_mov_b32 vcc_lo, s1
	v_fma_f32 v12, -v35, v31, v28
	v_div_fixup_f32 v14, v19, v17, v23
	v_add_f32_e32 v4, v4, v13
	v_div_fixup_f32 v7, v8, v25, v7
	v_div_fixup_f32 v13, v22, v17, v18
	v_div_fmas_f32 v8, v12, v40, v31
	v_div_fixup_f32 v12, v30, v17, v21
	v_add_f32_e32 v15, v15, v14
	v_add_f32_e32 v4, v7, v4
	v_cmp_lt_f32_e32 vcc_lo, v10, v3
	v_div_fixup_f32 v6, v8, v17, v6
	v_add_f32_e32 v5, v12, v5
	v_add_f32_e32 v11, v11, v13
	v_mov_b32_e32 v12, v15
	v_cndmask_b32_e32 v10, v10, v3, vcc_lo
	v_add_f32_e32 v14, v6, v4
	v_mov_b32_e32 v13, v5
	v_mov_b32_e32 v8, v17
.LBB35_71:
	s_or_b32 exec_lo, exec_lo, s5
	v_cmp_gt_u32_e32 vcc_lo, 24, v1
	v_add_nc_u32_e32 v17, 8, v1
	s_mov_b32 s5, exec_lo
	s_waitcnt lgkmcnt(4)
	v_cndmask_b32_e64 v3, 0, 8, vcc_lo
	s_waitcnt lgkmcnt(0)
	v_add_lshl_u32 v4, v3, v1, 2
	ds_bpermute_b32 v6, v4, v8
	ds_bpermute_b32 v15, v4, v9
	;; [unrolled: 1-line block ×7, first 2 shown]
	v_cmpx_lt_u32_e64 v17, v2
	s_cbranch_execz .LBB35_73
; %bb.72:
	s_waitcnt lgkmcnt(3)
	v_sub_f32_e32 v16, v16, v11
	v_add_f32_e32 v17, v8, v6
	v_cmp_gt_f32_e32 vcc_lo, v9, v15
	v_sub_f32_e32 v20, v8, v6
	v_mul_f32_e32 v21, v12, v6
	v_mul_f32_e32 v18, v16, v6
	;; [unrolled: 1-line block ×3, first 2 shown]
	v_cndmask_b32_e32 v9, v9, v15, vcc_lo
	v_mul_f32_e32 v24, v8, v8
	v_mul_f32_e32 v28, 0x40400000, v16
	v_div_scale_f32 v22, null, v17, v17, v18
	v_mul_f32_e32 v23, v8, v19
	v_mul_f32_e32 v26, v16, v19
	v_div_scale_f32 v35, vcc_lo, v18, v17, v18
	v_rcp_f32_e32 v27, v22
	v_mul_f32_e32 v23, v23, v6
	v_mul_f32_e32 v29, v8, v26
	v_mul_f32_e32 v26, v16, v26
	s_waitcnt lgkmcnt(2)
	v_fma_f32 v21, v8, v7, -v21
	v_fma_f32 v31, -v8, v6, v24
	v_div_scale_f32 v30, null, v17, v17, v23
	v_mul_f32_e32 v29, v29, v6
	v_mul_f32_e32 v26, v8, v26
	v_fma_f32 v33, -v22, v27, 1.0
	v_rcp_f32_e32 v34, v30
	v_mul_f32_e32 v25, v17, v17
	v_mul_f32_e32 v20, v20, v29
	;; [unrolled: 1-line block ×3, first 2 shown]
	v_fmac_f32_e32 v27, v33, v27
	v_fmac_f32_e32 v31, v6, v6
	v_mul_f32_e32 v26, v26, v6
	v_mul_f32_e32 v32, v17, v25
	v_div_scale_f32 v28, null, v25, v25, v20
	v_mul_f32_e32 v29, v35, v27
	v_fma_f32 v33, -v30, v34, 1.0
	v_mul_f32_e32 v26, v31, v26
	v_add_f32_e32 v15, v12, v7
	v_div_scale_f32 v36, s0, v23, v17, v23
	v_fma_f32 v38, -v22, v29, v35
	v_fmac_f32_e32 v34, v33, v34
	v_div_scale_f32 v33, null, v17, v17, v21
	v_rcp_f32_e32 v37, v28
	v_fmac_f32_e32 v29, v38, v27
	v_mul_f32_e32 v7, v24, v7
	v_rcp_f32_e32 v39, v33
	v_div_scale_f32 v24, null, v32, v32, v26
	v_fma_f32 v22, -v22, v29, v35
	v_mul_f32_e32 v38, v36, v34
	v_mul_f32_e32 v19, 0x40c00000, v19
	v_mul_f32_e32 v16, 4.0, v16
	v_fma_f32 v40, -v28, v37, 1.0
	v_div_fmas_f32 v22, v22, v27, v29
	v_mul_f32_e32 v27, v6, v6
	v_rcp_f32_e32 v29, v24
	v_mul_f32_e32 v6, v13, v6
	v_fma_f32 v35, -v30, v38, v36
	v_fmac_f32_e32 v37, v40, v37
	v_fmac_f32_e32 v7, v12, v27
	v_fma_f32 v27, -v33, v39, 1.0
	s_waitcnt lgkmcnt(1)
	v_fma_f32 v6, v8, v5, -v6
	v_fmac_f32_e32 v38, v35, v34
	v_div_scale_f32 v12, s1, v20, v25, v20
	v_mul_f32_e32 v7, v19, v7
	v_fmac_f32_e32 v39, v27, v39
	v_fma_f32 v35, -v24, v29, 1.0
	v_mul_f32_e32 v6, v16, v6
	v_fma_f32 v19, -v30, v38, v36
	v_div_scale_f32 v27, null, v25, v25, v7
	v_mul_f32_e32 v30, v12, v37
	v_fmac_f32_e32 v29, v35, v29
	v_div_scale_f32 v35, null, v17, v17, v6
	v_rcp_f32_e32 v8, v27
	v_div_scale_f32 v31, s2, v21, v17, v21
	s_mov_b32 vcc_lo, s0
	v_fma_f32 v16, -v28, v30, v12
	v_div_scale_f32 v36, s0, v26, v32, v26
	v_rcp_f32_e32 v40, v35
	v_div_fmas_f32 v19, v19, v34, v38
	v_mul_f32_e32 v34, v31, v39
	v_fma_f32 v38, -v27, v8, 1.0
	v_fmac_f32_e32 v30, v16, v37
	v_mul_f32_e32 v41, v36, v29
	v_add_f32_e32 v5, v13, v5
	v_fma_f32 v16, -v33, v34, v31
	v_fmac_f32_e32 v8, v38, v8
	v_div_scale_f32 v38, s3, v7, v25, v7
	v_fma_f32 v12, -v28, v30, v12
	v_fma_f32 v13, -v24, v41, v36
	v_fma_f32 v28, -v35, v40, 1.0
	v_fmac_f32_e32 v34, v16, v39
	v_mul_f32_e32 v16, v38, v8
	s_mov_b32 vcc_lo, s1
	v_fmac_f32_e32 v41, v13, v29
	v_fmac_f32_e32 v40, v28, v40
	v_div_scale_f32 v28, s1, v6, v17, v6
	v_div_fmas_f32 v12, v12, v37, v30
	v_fma_f32 v30, -v33, v34, v31
	v_fma_f32 v13, -v27, v16, v38
	;; [unrolled: 1-line block ×3, first 2 shown]
	v_mul_f32_e32 v31, v28, v40
	s_mov_b32 vcc_lo, s2
	v_div_fixup_f32 v12, v12, v25, v20
	v_div_fmas_f32 v30, v30, v39, v34
	s_mov_b32 vcc_lo, s0
	v_fmac_f32_e32 v16, v13, v8
	v_div_fmas_f32 v13, v24, v29, v41
	v_fma_f32 v24, -v35, v31, v28
	s_waitcnt lgkmcnt(0)
	v_add_f32_e32 v4, v14, v4
	s_mov_b32 vcc_lo, s3
	v_fma_f32 v14, -v27, v16, v38
	v_div_fixup_f32 v13, v13, v32, v26
	v_fmac_f32_e32 v31, v24, v40
	v_add_f32_e32 v5, v5, v12
	v_div_fmas_f32 v8, v14, v8, v16
	s_mov_b32 vcc_lo, s1
	v_fma_f32 v12, -v35, v31, v28
	v_div_fixup_f32 v14, v19, v17, v23
	v_add_f32_e32 v4, v4, v13
	v_div_fixup_f32 v7, v8, v25, v7
	v_div_fixup_f32 v13, v22, v17, v18
	v_div_fmas_f32 v8, v12, v40, v31
	v_div_fixup_f32 v12, v30, v17, v21
	v_add_f32_e32 v15, v15, v14
	v_add_f32_e32 v4, v7, v4
	v_cmp_lt_f32_e32 vcc_lo, v10, v3
	v_div_fixup_f32 v6, v8, v17, v6
	v_add_f32_e32 v5, v12, v5
	v_add_f32_e32 v11, v11, v13
	v_mov_b32_e32 v12, v15
	v_cndmask_b32_e32 v10, v10, v3, vcc_lo
	v_add_f32_e32 v14, v6, v4
	v_mov_b32_e32 v13, v5
	v_mov_b32_e32 v8, v17
.LBB35_73:
	s_or_b32 exec_lo, exec_lo, s5
	s_waitcnt lgkmcnt(4)
	v_lshlrev_b32_e32 v3, 2, v1
	v_add_nc_u32_e32 v18, 16, v1
	s_mov_b32 s5, exec_lo
	s_waitcnt lgkmcnt(1)
	v_or_b32_e32 v5, 64, v3
	ds_bpermute_b32 v7, v5, v8
	ds_bpermute_b32 v16, v5, v9
	s_waitcnt lgkmcnt(2)
	ds_bpermute_b32 v4, v5, v10
	ds_bpermute_b32 v17, v5, v11
	;; [unrolled: 1-line block ×5, first 2 shown]
	v_cmpx_lt_u32_e64 v18, v2
	s_cbranch_execz .LBB35_75
; %bb.74:
	s_waitcnt lgkmcnt(3)
	v_sub_f32_e32 v2, v17, v11
	v_add_f32_e32 v17, v8, v7
	v_cmp_gt_f32_e32 vcc_lo, v9, v16
	v_sub_f32_e32 v20, v8, v7
	v_mul_f32_e32 v21, v12, v7
	v_mul_f32_e32 v18, v2, v7
	;; [unrolled: 1-line block ×3, first 2 shown]
	v_cndmask_b32_e32 v9, v9, v16, vcc_lo
	v_mul_f32_e32 v24, v8, v8
	v_mul_f32_e32 v28, 0x40400000, v2
	v_div_scale_f32 v22, null, v17, v17, v18
	v_mul_f32_e32 v23, v8, v19
	v_mul_f32_e32 v26, v2, v19
	v_div_scale_f32 v35, vcc_lo, v18, v17, v18
	v_rcp_f32_e32 v27, v22
	v_mul_f32_e32 v23, v23, v7
	v_mul_f32_e32 v29, v8, v26
	;; [unrolled: 1-line block ×3, first 2 shown]
	s_waitcnt lgkmcnt(2)
	v_fma_f32 v21, v8, v15, -v21
	v_fma_f32 v31, -v8, v7, v24
	v_div_scale_f32 v30, null, v17, v17, v23
	v_mul_f32_e32 v29, v29, v7
	v_mul_f32_e32 v26, v8, v26
	v_fma_f32 v33, -v22, v27, 1.0
	v_rcp_f32_e32 v34, v30
	v_mul_f32_e32 v25, v17, v17
	v_mul_f32_e32 v20, v20, v29
	;; [unrolled: 1-line block ×3, first 2 shown]
	v_fmac_f32_e32 v27, v33, v27
	v_fmac_f32_e32 v31, v7, v7
	v_mul_f32_e32 v26, v26, v7
	v_mul_f32_e32 v32, v17, v25
	v_div_scale_f32 v28, null, v25, v25, v20
	v_mul_f32_e32 v29, v35, v27
	v_fma_f32 v33, -v30, v34, 1.0
	v_mul_f32_e32 v26, v31, v26
	v_add_f32_e32 v16, v12, v15
	v_div_scale_f32 v36, s0, v23, v17, v23
	v_fma_f32 v38, -v22, v29, v35
	v_fmac_f32_e32 v34, v33, v34
	v_div_scale_f32 v33, null, v17, v17, v21
	v_rcp_f32_e32 v37, v28
	v_fmac_f32_e32 v29, v38, v27
	v_mul_f32_e32 v15, v24, v15
	v_rcp_f32_e32 v39, v33
	v_div_scale_f32 v24, null, v32, v32, v26
	v_fma_f32 v22, -v22, v29, v35
	v_mul_f32_e32 v38, v36, v34
	v_mul_f32_e32 v19, 0x40c00000, v19
	v_mul_f32_e32 v2, 4.0, v2
	v_fma_f32 v40, -v28, v37, 1.0
	v_div_fmas_f32 v22, v22, v27, v29
	v_mul_f32_e32 v27, v7, v7
	v_rcp_f32_e32 v29, v24
	v_mul_f32_e32 v7, v13, v7
	v_fma_f32 v35, -v30, v38, v36
	v_fmac_f32_e32 v37, v40, v37
	v_fmac_f32_e32 v15, v12, v27
	v_fma_f32 v27, -v33, v39, 1.0
	s_waitcnt lgkmcnt(1)
	v_fma_f32 v7, v8, v6, -v7
	v_fmac_f32_e32 v38, v35, v34
	v_div_scale_f32 v12, s1, v20, v25, v20
	v_mul_f32_e32 v15, v19, v15
	v_fmac_f32_e32 v39, v27, v39
	v_fma_f32 v35, -v24, v29, 1.0
	v_mul_f32_e32 v2, v2, v7
	v_fma_f32 v19, -v30, v38, v36
	v_div_scale_f32 v27, null, v25, v25, v15
	v_mul_f32_e32 v30, v12, v37
	v_div_scale_f32 v31, s2, v21, v17, v21
	v_rcp_f32_e32 v8, v27
	v_fmac_f32_e32 v29, v35, v29
	v_div_scale_f32 v35, null, v17, v17, v2
	s_mov_b32 vcc_lo, s0
	v_fma_f32 v7, -v28, v30, v12
	v_div_fmas_f32 v19, v19, v34, v38
	v_mul_f32_e32 v34, v31, v39
	v_div_scale_f32 v36, s0, v26, v32, v26
	v_rcp_f32_e32 v40, v35
	v_fma_f32 v38, -v27, v8, 1.0
	v_fmac_f32_e32 v30, v7, v37
	v_fma_f32 v7, -v33, v34, v31
	v_mul_f32_e32 v41, v36, v29
	v_add_f32_e32 v6, v13, v6
	v_fmac_f32_e32 v8, v38, v8
	v_div_scale_f32 v38, s3, v15, v25, v15
	v_fma_f32 v12, -v28, v30, v12
	v_fmac_f32_e32 v34, v7, v39
	v_fma_f32 v7, -v24, v41, v36
	v_fma_f32 v28, -v35, v40, 1.0
	v_mul_f32_e32 v13, v38, v8
	s_mov_b32 vcc_lo, s1
	s_waitcnt lgkmcnt(0)
	v_add_f32_e32 v5, v14, v5
	v_fmac_f32_e32 v41, v7, v29
	v_fmac_f32_e32 v40, v28, v40
	v_div_scale_f32 v28, s1, v2, v17, v2
	v_div_fmas_f32 v12, v12, v37, v30
	v_fma_f32 v30, -v33, v34, v31
	v_fma_f32 v7, -v27, v13, v38
	;; [unrolled: 1-line block ×3, first 2 shown]
	v_mul_f32_e32 v31, v28, v40
	s_mov_b32 vcc_lo, s2
	v_div_fixup_f32 v12, v12, v25, v20
	v_div_fmas_f32 v30, v30, v39, v34
	s_mov_b32 vcc_lo, s0
	v_fmac_f32_e32 v13, v7, v8
	v_div_fmas_f32 v7, v24, v29, v41
	v_fma_f32 v24, -v35, v31, v28
	s_mov_b32 vcc_lo, s3
	v_add_f32_e32 v6, v6, v12
	v_fma_f32 v14, -v27, v13, v38
	v_div_fixup_f32 v7, v7, v32, v26
	v_fmac_f32_e32 v31, v24, v40
	v_div_fmas_f32 v8, v14, v8, v13
	s_mov_b32 vcc_lo, s1
	v_fma_f32 v12, -v35, v31, v28
	v_div_fixup_f32 v13, v19, v17, v23
	v_add_f32_e32 v5, v5, v7
	v_div_fixup_f32 v7, v8, v25, v15
	v_div_fixup_f32 v14, v22, v17, v18
	v_div_fmas_f32 v8, v12, v40, v31
	v_div_fixup_f32 v12, v30, v17, v21
	v_add_f32_e32 v15, v16, v13
	v_add_f32_e32 v5, v7, v5
	v_cmp_lt_f32_e32 vcc_lo, v10, v4
	v_div_fixup_f32 v2, v8, v17, v2
	v_add_f32_e32 v13, v12, v6
	v_add_f32_e32 v11, v11, v14
	v_mov_b32_e32 v12, v15
	v_cndmask_b32_e32 v10, v10, v4, vcc_lo
	v_add_f32_e32 v14, v2, v5
	v_mov_b32_e32 v8, v17
.LBB35_75:
	s_or_b32 exec_lo, exec_lo, s5
	s_mov_b32 s0, exec_lo
	v_cmpx_eq_u32_e32 0, v1
	s_cbranch_execz .LBB35_77
; %bb.76:
	v_lshrrev_b32_e32 v2, 5, v0
	v_mul_u32_u24_e32 v2, 28, v2
	ds_write2_b32 v2, v8, v9 offset1:1
	ds_write2_b32 v2, v10, v11 offset0:2 offset1:3
	ds_write2_b32 v2, v12, v13 offset0:4 offset1:5
	ds_write_b32 v2, v14 offset:24
.LBB35_77:
	s_or_b32 exec_lo, exec_lo, s0
	s_mov_b32 s5, exec_lo
	s_waitcnt lgkmcnt(0)
	s_barrier
	buffer_gl0_inv
	v_cmpx_gt_u32_e32 8, v0
	s_cbranch_execz .LBB35_85
; %bb.78:
	v_mul_u32_u24_e32 v4, 28, v1
	v_and_b32_e32 v2, 7, v1
	s_add_i32 s4, s4, 31
	ds_read2_b32 v[8:9], v4 offset1:1
	ds_read2_b32 v[10:11], v4 offset0:2 offset1:3
	ds_read2_b32 v[12:13], v4 offset0:4 offset1:5
	ds_read_b32 v14, v4 offset:24
	v_cmp_ne_u32_e32 vcc_lo, 7, v2
	s_lshr_b32 s4, s4, 5
	v_add_co_ci_u32_e64 v4, null, 0, v1, vcc_lo
	v_lshlrev_b32_e32 v4, 2, v4
	s_waitcnt lgkmcnt(3)
	ds_bpermute_b32 v15, v4, v8
	ds_bpermute_b32 v19, v4, v9
	s_waitcnt lgkmcnt(4)
	ds_bpermute_b32 v5, v4, v10
	ds_bpermute_b32 v20, v4, v11
	;; [unrolled: 3-line block ×3, first 2 shown]
	s_waitcnt lgkmcnt(6)
	ds_bpermute_b32 v6, v4, v14
	v_add_nc_u32_e32 v4, 1, v2
	v_mov_b32_e32 v18, v13
	v_mov_b32_e32 v17, v12
	v_cmp_gt_u32_e32 vcc_lo, s4, v4
	v_mov_b32_e32 v4, v8
	s_and_saveexec_b32 s22, vcc_lo
	s_cbranch_execz .LBB35_80
; %bb.79:
	s_waitcnt lgkmcnt(3)
	v_sub_f32_e32 v17, v20, v11
	v_cmp_gt_f32_e32 vcc_lo, v9, v19
	v_add_f32_e32 v4, v8, v15
	v_sub_f32_e32 v21, v8, v15
	v_mul_f32_e32 v22, v12, v15
	v_mul_f32_e32 v20, v17, v17
	v_cndmask_b32_e32 v9, v9, v19, vcc_lo
	v_mul_f32_e32 v19, v17, v15
	v_mul_f32_e32 v25, v8, v8
	;; [unrolled: 1-line block ×5, first 2 shown]
	v_div_scale_f32 v23, null, v4, v4, v19
	v_div_scale_f32 v36, vcc_lo, v19, v4, v19
	v_mul_f32_e32 v24, v24, v15
	v_rcp_f32_e32 v28, v23
	v_mul_f32_e32 v30, v8, v27
	v_mul_f32_e32 v27, v17, v27
	s_waitcnt lgkmcnt(2)
	v_fma_f32 v22, v8, v16, -v22
	v_div_scale_f32 v31, null, v4, v4, v24
	v_mul_f32_e32 v30, v30, v15
	v_fma_f32 v32, -v8, v15, v25
	v_mul_f32_e32 v27, v8, v27
	v_rcp_f32_e32 v35, v31
	v_fma_f32 v34, -v23, v28, 1.0
	v_mul_f32_e32 v21, v21, v30
	v_mul_f32_e32 v26, v4, v4
	;; [unrolled: 1-line block ×3, first 2 shown]
	v_fmac_f32_e32 v32, v15, v15
	v_fmac_f32_e32 v28, v34, v28
	v_mul_f32_e32 v27, v27, v15
	v_mul_f32_e32 v33, v4, v26
	v_div_scale_f32 v29, null, v26, v26, v21
	v_mul_f32_e32 v30, v36, v28
	v_fma_f32 v34, -v31, v35, 1.0
	v_mul_f32_e32 v27, v32, v27
	v_add_f32_e32 v18, v12, v16
	v_div_scale_f32 v37, s0, v24, v4, v24
	v_fma_f32 v39, -v23, v30, v36
	v_fmac_f32_e32 v35, v34, v35
	v_div_scale_f32 v34, null, v4, v4, v22
	v_rcp_f32_e32 v38, v29
	v_fmac_f32_e32 v30, v39, v28
	v_mul_f32_e32 v16, v25, v16
	v_rcp_f32_e32 v40, v34
	v_div_scale_f32 v25, null, v33, v33, v27
	v_fma_f32 v23, -v23, v30, v36
	v_mul_f32_e32 v39, v37, v35
	v_mul_f32_e32 v20, 0x40c00000, v20
	v_mul_f32_e32 v17, 4.0, v17
	v_fma_f32 v41, -v29, v38, 1.0
	v_div_fmas_f32 v23, v23, v28, v30
	v_mul_f32_e32 v28, v15, v15
	v_rcp_f32_e32 v30, v25
	v_mul_f32_e32 v15, v13, v15
	v_fma_f32 v36, -v31, v39, v37
	v_fmac_f32_e32 v38, v41, v38
	v_fmac_f32_e32 v16, v12, v28
	v_fma_f32 v28, -v34, v40, 1.0
	s_waitcnt lgkmcnt(1)
	v_fma_f32 v8, v8, v7, -v15
	v_fmac_f32_e32 v39, v36, v35
	v_div_scale_f32 v12, s1, v21, v26, v21
	v_mul_f32_e32 v16, v20, v16
	v_fmac_f32_e32 v40, v28, v40
	v_fma_f32 v36, -v25, v30, 1.0
	v_mul_f32_e32 v8, v17, v8
	v_fma_f32 v20, -v31, v39, v37
	v_div_scale_f32 v28, null, v26, v26, v16
	v_mul_f32_e32 v31, v12, v38
	v_fmac_f32_e32 v30, v36, v30
	v_div_scale_f32 v36, null, v4, v4, v8
	v_rcp_f32_e32 v15, v28
	v_div_scale_f32 v32, s2, v22, v4, v22
	s_mov_b32 vcc_lo, s0
	v_fma_f32 v17, -v29, v31, v12
	v_div_scale_f32 v37, s0, v27, v33, v27
	v_rcp_f32_e32 v41, v36
	v_div_fmas_f32 v20, v20, v35, v39
	v_mul_f32_e32 v35, v32, v40
	v_fma_f32 v39, -v28, v15, 1.0
	v_fmac_f32_e32 v31, v17, v38
	v_mul_f32_e32 v42, v37, v30
	v_add_f32_e32 v7, v13, v7
	v_fma_f32 v17, -v34, v35, v32
	v_fmac_f32_e32 v15, v39, v15
	v_div_scale_f32 v39, s3, v16, v26, v16
	v_fma_f32 v12, -v29, v31, v12
	v_fma_f32 v13, -v25, v42, v37
	v_fma_f32 v29, -v36, v41, 1.0
	v_fmac_f32_e32 v35, v17, v40
	v_mul_f32_e32 v17, v39, v15
	s_mov_b32 vcc_lo, s1
	v_fmac_f32_e32 v42, v13, v30
	v_fmac_f32_e32 v41, v29, v41
	v_div_scale_f32 v29, s1, v8, v4, v8
	v_div_fmas_f32 v12, v12, v38, v31
	v_fma_f32 v31, -v34, v35, v32
	v_fma_f32 v13, -v28, v17, v39
	;; [unrolled: 1-line block ×3, first 2 shown]
	v_mul_f32_e32 v32, v29, v41
	s_mov_b32 vcc_lo, s2
	v_div_fixup_f32 v12, v12, v26, v21
	v_div_fmas_f32 v31, v31, v40, v35
	s_mov_b32 vcc_lo, s0
	v_fmac_f32_e32 v17, v13, v15
	v_div_fmas_f32 v13, v25, v30, v42
	v_fma_f32 v25, -v36, v32, v29
	s_waitcnt lgkmcnt(0)
	v_add_f32_e32 v6, v14, v6
	s_mov_b32 vcc_lo, s3
	v_fma_f32 v14, -v28, v17, v39
	v_div_fixup_f32 v13, v13, v33, v27
	v_fmac_f32_e32 v32, v25, v41
	v_add_f32_e32 v7, v7, v12
	v_div_fmas_f32 v14, v14, v15, v17
	s_mov_b32 vcc_lo, s1
	v_fma_f32 v12, -v36, v32, v29
	v_div_fixup_f32 v15, v20, v4, v24
	v_add_f32_e32 v6, v6, v13
	v_div_fixup_f32 v13, v14, v26, v16
	v_div_fixup_f32 v14, v31, v4, v22
	v_div_fmas_f32 v12, v12, v41, v32
	v_div_fixup_f32 v16, v23, v4, v19
	v_add_f32_e32 v17, v18, v15
	v_add_f32_e32 v6, v13, v6
	v_add_f32_e32 v18, v14, v7
	v_div_fixup_f32 v8, v12, v4, v8
	v_cmp_lt_f32_e32 vcc_lo, v10, v5
	v_add_f32_e32 v11, v11, v16
	v_mov_b32_e32 v12, v17
	v_mov_b32_e32 v13, v18
	v_add_f32_e32 v14, v8, v6
	v_cndmask_b32_e32 v10, v10, v5, vcc_lo
	v_mov_b32_e32 v8, v4
.LBB35_80:
	s_or_b32 exec_lo, exec_lo, s22
	v_cmp_gt_u32_e32 vcc_lo, 6, v2
	s_waitcnt lgkmcnt(3)
	v_add_nc_u32_e32 v20, 2, v2
	s_mov_b32 s22, exec_lo
	v_cndmask_b32_e64 v5, 0, 2, vcc_lo
	v_add_lshl_u32 v5, v5, v1, 2
	s_waitcnt lgkmcnt(1)
	ds_bpermute_b32 v7, v5, v4
	ds_bpermute_b32 v16, v5, v9
	;; [unrolled: 1-line block ×5, first 2 shown]
	s_waitcnt lgkmcnt(5)
	ds_bpermute_b32 v6, v5, v18
	ds_bpermute_b32 v5, v5, v14
	v_cmpx_gt_u32_e64 s4, v20
	s_cbranch_execz .LBB35_82
; %bb.81:
	s_waitcnt lgkmcnt(3)
	v_sub_f32_e32 v17, v19, v11
	v_add_f32_e32 v4, v8, v7
	v_cmp_gt_f32_e32 vcc_lo, v9, v16
	v_sub_f32_e32 v20, v8, v7
	v_mul_f32_e32 v21, v12, v7
	v_mul_f32_e32 v18, v17, v7
	;; [unrolled: 1-line block ×3, first 2 shown]
	v_cndmask_b32_e32 v9, v9, v16, vcc_lo
	v_mul_f32_e32 v24, v8, v8
	v_mul_f32_e32 v28, 0x40400000, v17
	v_div_scale_f32 v22, null, v4, v4, v18
	v_mul_f32_e32 v23, v8, v19
	v_mul_f32_e32 v26, v17, v19
	v_div_scale_f32 v35, vcc_lo, v18, v4, v18
	v_rcp_f32_e32 v27, v22
	v_mul_f32_e32 v23, v23, v7
	v_mul_f32_e32 v29, v8, v26
	;; [unrolled: 1-line block ×3, first 2 shown]
	s_waitcnt lgkmcnt(2)
	v_fma_f32 v21, v8, v15, -v21
	v_fma_f32 v31, -v8, v7, v24
	v_div_scale_f32 v30, null, v4, v4, v23
	v_mul_f32_e32 v29, v29, v7
	v_mul_f32_e32 v26, v8, v26
	v_fma_f32 v33, -v22, v27, 1.0
	v_rcp_f32_e32 v34, v30
	v_mul_f32_e32 v25, v4, v4
	v_mul_f32_e32 v20, v20, v29
	;; [unrolled: 1-line block ×3, first 2 shown]
	v_fmac_f32_e32 v27, v33, v27
	v_fmac_f32_e32 v31, v7, v7
	v_mul_f32_e32 v26, v26, v7
	v_mul_f32_e32 v32, v4, v25
	v_div_scale_f32 v28, null, v25, v25, v20
	v_mul_f32_e32 v29, v35, v27
	v_fma_f32 v33, -v30, v34, 1.0
	v_mul_f32_e32 v26, v31, v26
	v_add_f32_e32 v16, v12, v15
	v_div_scale_f32 v36, s0, v23, v4, v23
	v_fma_f32 v38, -v22, v29, v35
	v_fmac_f32_e32 v34, v33, v34
	v_div_scale_f32 v33, null, v4, v4, v21
	v_rcp_f32_e32 v37, v28
	v_fmac_f32_e32 v29, v38, v27
	v_mul_f32_e32 v15, v24, v15
	v_rcp_f32_e32 v39, v33
	v_div_scale_f32 v24, null, v32, v32, v26
	v_fma_f32 v22, -v22, v29, v35
	v_mul_f32_e32 v38, v36, v34
	v_mul_f32_e32 v19, 0x40c00000, v19
	v_mul_f32_e32 v17, 4.0, v17
	v_fma_f32 v40, -v28, v37, 1.0
	v_div_fmas_f32 v22, v22, v27, v29
	v_mul_f32_e32 v27, v7, v7
	v_rcp_f32_e32 v29, v24
	v_mul_f32_e32 v7, v13, v7
	v_fma_f32 v35, -v30, v38, v36
	v_fmac_f32_e32 v37, v40, v37
	v_fmac_f32_e32 v15, v12, v27
	v_fma_f32 v27, -v33, v39, 1.0
	s_waitcnt lgkmcnt(1)
	v_fma_f32 v7, v8, v6, -v7
	v_fmac_f32_e32 v38, v35, v34
	v_div_scale_f32 v12, s1, v20, v25, v20
	v_mul_f32_e32 v15, v19, v15
	v_fmac_f32_e32 v39, v27, v39
	v_fma_f32 v35, -v24, v29, 1.0
	v_mul_f32_e32 v7, v17, v7
	v_fma_f32 v19, -v30, v38, v36
	v_div_scale_f32 v27, null, v25, v25, v15
	v_mul_f32_e32 v30, v12, v37
	v_fmac_f32_e32 v29, v35, v29
	v_div_scale_f32 v35, null, v4, v4, v7
	v_rcp_f32_e32 v8, v27
	v_div_scale_f32 v31, s2, v21, v4, v21
	s_mov_b32 vcc_lo, s0
	v_fma_f32 v17, -v28, v30, v12
	v_div_scale_f32 v36, s0, v26, v32, v26
	v_rcp_f32_e32 v40, v35
	v_div_fmas_f32 v19, v19, v34, v38
	v_mul_f32_e32 v34, v31, v39
	v_fma_f32 v38, -v27, v8, 1.0
	v_fmac_f32_e32 v30, v17, v37
	v_mul_f32_e32 v41, v36, v29
	v_add_f32_e32 v6, v13, v6
	v_fma_f32 v17, -v33, v34, v31
	v_fmac_f32_e32 v8, v38, v8
	v_div_scale_f32 v38, s3, v15, v25, v15
	v_fma_f32 v12, -v28, v30, v12
	v_fma_f32 v13, -v24, v41, v36
	v_fma_f32 v28, -v35, v40, 1.0
	v_fmac_f32_e32 v34, v17, v39
	v_mul_f32_e32 v17, v38, v8
	s_mov_b32 vcc_lo, s1
	v_fmac_f32_e32 v41, v13, v29
	v_fmac_f32_e32 v40, v28, v40
	v_div_scale_f32 v28, s1, v7, v4, v7
	v_div_fmas_f32 v12, v12, v37, v30
	v_fma_f32 v30, -v33, v34, v31
	v_fma_f32 v13, -v27, v17, v38
	;; [unrolled: 1-line block ×3, first 2 shown]
	v_mul_f32_e32 v31, v28, v40
	s_mov_b32 vcc_lo, s2
	v_div_fixup_f32 v12, v12, v25, v20
	v_div_fmas_f32 v30, v30, v39, v34
	s_mov_b32 vcc_lo, s0
	v_fmac_f32_e32 v17, v13, v8
	v_div_fmas_f32 v13, v24, v29, v41
	v_fma_f32 v24, -v35, v31, v28
	s_waitcnt lgkmcnt(0)
	v_add_f32_e32 v5, v14, v5
	s_mov_b32 vcc_lo, s3
	v_fma_f32 v14, -v27, v17, v38
	v_div_fixup_f32 v13, v13, v32, v26
	v_fmac_f32_e32 v31, v24, v40
	v_add_f32_e32 v6, v6, v12
	v_div_fmas_f32 v8, v14, v8, v17
	s_mov_b32 vcc_lo, s1
	v_fma_f32 v12, -v35, v31, v28
	v_div_fixup_f32 v14, v19, v4, v23
	v_add_f32_e32 v5, v5, v13
	v_div_fixup_f32 v8, v8, v25, v15
	v_div_fixup_f32 v13, v30, v4, v21
	v_div_fmas_f32 v12, v12, v40, v31
	v_div_fixup_f32 v15, v22, v4, v18
	v_add_f32_e32 v17, v16, v14
	v_add_f32_e32 v5, v8, v5
	;; [unrolled: 1-line block ×3, first 2 shown]
	v_div_fixup_f32 v7, v12, v4, v7
	v_cmp_lt_f32_e32 vcc_lo, v10, v1
	v_add_f32_e32 v11, v11, v15
	v_mov_b32_e32 v12, v17
	v_mov_b32_e32 v13, v18
	v_add_f32_e32 v14, v7, v5
	v_cndmask_b32_e32 v10, v10, v1, vcc_lo
	v_mov_b32_e32 v8, v4
.LBB35_82:
	s_or_b32 exec_lo, exec_lo, s22
	s_waitcnt lgkmcnt(0)
	v_or_b32_e32 v5, 16, v3
	v_add_nc_u32_e32 v2, 4, v2
	s_mov_b32 s22, exec_lo
	ds_bpermute_b32 v6, v5, v4
	ds_bpermute_b32 v7, v5, v9
	;; [unrolled: 1-line block ×7, first 2 shown]
	v_cmpx_gt_u32_e64 s4, v2
	s_cbranch_execz .LBB35_84
; %bb.83:
	s_waitcnt lgkmcnt(3)
	v_sub_f32_e32 v2, v15, v11
	v_cmp_gt_f32_e32 vcc_lo, v9, v7
	v_add_f32_e32 v15, v8, v6
	v_sub_f32_e32 v16, v8, v6
	v_mul_f32_e32 v20, v8, v8
	v_mul_f32_e32 v18, v2, v2
	v_cndmask_b32_e32 v9, v9, v7, vcc_lo
	v_mul_f32_e32 v7, v2, v6
	v_mul_f32_e32 v17, v12, v6
	v_fma_f32 v27, -v8, v6, v20
	v_mul_f32_e32 v22, v8, v18
	v_mul_f32_e32 v23, v2, v18
	v_div_scale_f32 v19, null, v15, v15, v7
	v_div_scale_f32 v31, vcc_lo, v7, v15, v7
	v_mul_f32_e32 v22, v22, v6
	v_rcp_f32_e32 v24, v19
	v_mul_f32_e32 v26, v8, v23
	v_mul_f32_e32 v23, v2, v23
	;; [unrolled: 1-line block ×3, first 2 shown]
	v_div_scale_f32 v29, null, v15, v15, v22
	v_mul_f32_e32 v26, v26, v6
	v_mul_f32_e32 v23, v8, v23
	;; [unrolled: 1-line block ×3, first 2 shown]
	v_rcp_f32_e32 v32, v29
	v_fma_f32 v30, -v19, v24, 1.0
	v_mul_f32_e32 v16, v16, v26
	s_waitcnt lgkmcnt(2)
	v_fma_f32 v17, v8, v4, -v17
	v_div_scale_f32 v36, s0, v22, v15, v22
	v_fmac_f32_e32 v24, v30, v24
	v_fmac_f32_e32 v27, v6, v6
	v_mul_f32_e32 v23, v23, v6
	v_mul_f32_e32 v20, v20, v4
	v_fma_f32 v33, -v29, v32, 1.0
	v_mul_f32_e32 v26, v31, v24
	v_mul_f32_e32 v28, v15, v21
	;; [unrolled: 1-line block ×3, first 2 shown]
	v_div_scale_f32 v25, null, v21, v21, v16
	v_fma_f32 v35, -v19, v26, v31
	v_fmac_f32_e32 v32, v33, v32
	v_mul_f32_e32 v23, v27, v23
	v_mul_f32_e32 v18, 0x40c00000, v18
	v_div_scale_f32 v30, null, v15, v15, v17
	v_fmac_f32_e32 v26, v35, v24
	v_mul_f32_e32 v35, v36, v32
	v_rcp_f32_e32 v34, v25
	v_rcp_f32_e32 v33, v30
	v_mul_f32_e32 v2, 4.0, v2
	v_fma_f32 v19, -v19, v26, v31
	v_mul_f32_e32 v31, v6, v6
	v_mul_f32_e32 v6, v13, v6
	v_add_f32_e32 v4, v12, v4
	s_waitcnt lgkmcnt(0)
	v_add_f32_e32 v5, v14, v5
	v_div_fmas_f32 v19, v19, v24, v26
	v_fmac_f32_e32 v20, v12, v31
	v_div_scale_f32 v24, null, v28, v28, v23
	v_fma_f32 v26, -v29, v35, v36
	v_fma_f32 v37, -v25, v34, 1.0
	v_mul_f32_e32 v18, v18, v20
	v_rcp_f32_e32 v31, v24
	v_fma_f32 v6, v8, v3, -v6
	v_fmac_f32_e32 v35, v26, v32
	v_fmac_f32_e32 v34, v37, v34
	v_div_scale_f32 v26, null, v21, v21, v18
	v_div_fixup_f32 v7, v19, v15, v7
	v_div_scale_f32 v19, s1, v16, v21, v16
	v_rcp_f32_e32 v38, v26
	v_fma_f32 v27, -v30, v33, 1.0
	v_fma_f32 v37, -v24, v31, 1.0
	v_mul_f32_e32 v2, v2, v6
	v_mul_f32_e32 v20, v19, v34
	v_fma_f32 v8, -v29, v35, v36
	v_fmac_f32_e32 v33, v27, v33
	v_div_scale_f32 v27, s2, v17, v15, v17
	v_fmac_f32_e32 v31, v37, v31
	v_fma_f32 v37, -v26, v38, 1.0
	v_div_scale_f32 v39, null, v15, v15, v2
	v_fma_f32 v29, -v25, v20, v19
	v_mul_f32_e32 v36, v27, v33
	v_div_scale_f32 v6, s3, v23, v28, v23
	v_fmac_f32_e32 v38, v37, v38
	v_rcp_f32_e32 v37, v39
	v_fmac_f32_e32 v20, v29, v34
	v_fma_f32 v29, -v30, v36, v27
	v_mul_f32_e32 v40, v6, v31
	s_mov_b32 vcc_lo, s0
	v_div_scale_f32 v41, s4, v18, v21, v18
	v_div_fmas_f32 v8, v8, v32, v35
	v_fma_f32 v19, -v25, v20, v19
	v_fmac_f32_e32 v36, v29, v33
	v_fma_f32 v25, -v24, v40, v6
	v_fma_f32 v32, -v39, v37, 1.0
	s_mov_b32 vcc_lo, s1
	v_mul_f32_e32 v29, v41, v38
	v_div_fmas_f32 v19, v19, v34, v20
	v_fma_f32 v20, -v30, v36, v27
	v_fmac_f32_e32 v40, v25, v31
	v_fmac_f32_e32 v37, v32, v37
	v_div_scale_f32 v27, s0, v2, v15, v2
	v_fma_f32 v25, -v26, v29, v41
	v_fma_f32 v6, -v24, v40, v6
	s_mov_b32 vcc_lo, s2
	v_mul_f32_e32 v24, v27, v37
	v_div_fmas_f32 v20, v20, v33, v36
	v_fmac_f32_e32 v29, v25, v38
	s_mov_b32 vcc_lo, s3
	v_add_f32_e32 v3, v13, v3
	v_fma_f32 v25, -v39, v24, v27
	v_div_fmas_f32 v6, v6, v31, v40
	v_fma_f32 v12, -v26, v29, v41
	s_mov_b32 vcc_lo, s4
	v_div_fixup_f32 v13, v19, v21, v16
	v_fmac_f32_e32 v24, v25, v37
	v_div_fixup_f32 v6, v6, v28, v23
	v_div_fmas_f32 v12, v12, v38, v29
	s_mov_b32 vcc_lo, s0
	v_div_fixup_f32 v8, v8, v15, v22
	v_fma_f32 v14, -v39, v24, v27
	v_add_f32_e32 v5, v5, v6
	v_div_fixup_f32 v6, v12, v21, v18
	v_add_f32_e32 v3, v3, v13
	v_div_fixup_f32 v13, v20, v15, v17
	v_div_fmas_f32 v12, v14, v37, v24
	v_cmp_lt_f32_e32 vcc_lo, v10, v1
	v_add_f32_e32 v5, v6, v5
	v_add_f32_e32 v11, v11, v7
	;; [unrolled: 1-line block ×3, first 2 shown]
	v_div_fixup_f32 v2, v12, v15, v2
	v_cndmask_b32_e32 v10, v10, v1, vcc_lo
	v_add_f32_e32 v12, v4, v8
	v_mov_b32_e32 v8, v15
	v_add_f32_e32 v14, v2, v5
.LBB35_84:
	s_or_b32 exec_lo, exec_lo, s22
.LBB35_85:
	s_or_b32 exec_lo, exec_lo, s5
.LBB35_86:
                                        ; implicit-def: $vgpr7
                                        ; implicit-def: $vgpr4
	s_mov_b32 s0, exec_lo
	v_cmpx_eq_u32_e32 0, v0
	s_xor_b32 s5, exec_lo, s0
	s_cbranch_execz .LBB35_90
; %bb.87:
	s_waitcnt lgkmcnt(5)
	v_mov_b32_e32 v7, s18
	v_mov_b32_e32 v6, s17
	s_waitcnt lgkmcnt(0)
	v_mov_b32_e32 v5, s16
	v_mov_b32_e32 v4, s15
	v_mov_b32_e32 v3, s14
	v_mov_b32_e32 v2, s13
	v_mov_b32_e32 v1, s12
	s_cmp_eq_u64 s[8:9], 0
	s_cbranch_scc1 .LBB35_89
; %bb.88:
	v_subrev_f32_e32 v3, s15, v11
	v_add_f32_e32 v1, s12, v8
	v_cmp_gt_f32_e32 vcc_lo, s13, v9
	v_mul_f32_e32 v6, s16, v8
	v_mul_f32_e64 v11, s12, s12
	v_mul_f32_e32 v4, v3, v8
	v_mul_f32_e32 v7, v3, v3
	v_cndmask_b32_e32 v2, s13, v9, vcc_lo
	v_mul_f32_e32 v20, 0x40400000, v3
	v_fma_f32 v6, s12, v12, -v6
	v_div_scale_f32 v9, null, v1, v1, v4
	v_mul_f32_e32 v16, s12, v7
	v_div_scale_f32 v25, vcc_lo, v4, v1, v4
	v_rcp_f32_e32 v18, v9
	v_mul_f32_e32 v17, v3, v7
	v_mul_f32_e32 v16, v8, v16
	;; [unrolled: 1-line block ×3, first 2 shown]
	v_sub_f32_e32 v5, s12, v8
	v_mul_f32_e32 v15, v8, v8
	v_mul_f32_e32 v21, s12, v17
	v_div_scale_f32 v23, null, v1, v1, v16
	v_mul_f32_e32 v17, v3, v17
	v_fma_f32 v24, -v9, v18, 1.0
	v_fma_f32 v22, -s12, v8, v11
	v_rcp_f32_e32 v26, v23
	v_mul_f32_e32 v21, v8, v21
	v_mul_f32_e32 v17, s12, v17
	v_fmac_f32_e32 v18, v24, v18
	v_mul_f32_e32 v19, v1, v1
	v_fmac_f32_e32 v22, v8, v8
	v_mul_f32_e32 v5, v5, v21
	v_mul_f32_e32 v17, v8, v17
	;; [unrolled: 1-line block ×4, first 2 shown]
	v_fma_f32 v27, -v23, v26, 1.0
	v_mul_f32_e32 v21, v1, v19
	v_div_scale_f32 v20, null, v19, v19, v5
	v_fma_f32 v29, -v9, v24, v25
	v_fmac_f32_e32 v26, v27, v26
	v_div_scale_f32 v27, null, v1, v1, v6
	v_mul_f32_e32 v17, v22, v17
	v_fmac_f32_e32 v24, v29, v18
	v_mul_f32_e32 v7, 0x40c00000, v7
	v_fmac_f32_e32 v15, v11, v12
	v_rcp_f32_e32 v28, v20
	v_div_scale_f32 v30, s0, v16, v1, v16
	v_fma_f32 v9, -v9, v24, v25
	v_rcp_f32_e32 v25, v27
	v_mul_f32_e32 v7, v7, v15
	v_mul_f32_e32 v8, s17, v8
	;; [unrolled: 1-line block ×3, first 2 shown]
	v_div_fmas_f32 v9, v9, v18, v24
	v_div_scale_f32 v18, null, v21, v21, v17
	v_fma_f32 v31, -v20, v28, 1.0
	v_mul_f32_e32 v3, 4.0, v3
	v_fma_f32 v8, s12, v13, -v8
	v_fma_f32 v11, -v27, v25, 1.0
	v_rcp_f32_e32 v24, v18
	v_fma_f32 v22, -v23, v29, v30
	v_fmac_f32_e32 v28, v31, v28
	v_div_fixup_f32 v4, v9, v1, v4
	v_fmac_f32_e32 v25, v11, v25
	v_div_scale_f32 v11, null, v19, v19, v7
	v_div_scale_f32 v9, s1, v5, v19, v5
	v_mul_f32_e32 v3, v3, v8
	v_rcp_f32_e32 v32, v11
	v_fma_f32 v31, -v18, v24, 1.0
	v_fmac_f32_e32 v29, v22, v26
	v_mul_f32_e32 v15, v9, v28
	v_div_scale_f32 v22, s2, v6, v1, v6
	v_fmac_f32_e32 v24, v31, v24
	v_div_scale_f32 v34, null, v1, v1, v3
	v_fma_f32 v23, -v23, v29, v30
	v_fma_f32 v31, -v11, v32, 1.0
	v_fma_f32 v30, -v20, v15, v9
	v_mul_f32_e32 v33, v22, v25
	v_div_scale_f32 v8, s3, v17, v21, v17
	v_fmac_f32_e32 v32, v31, v32
	v_rcp_f32_e32 v31, v34
	v_fmac_f32_e32 v15, v30, v28
	v_fma_f32 v30, -v27, v33, v22
	v_mul_f32_e32 v35, v8, v24
	s_mov_b32 vcc_lo, s0
	v_div_scale_f32 v36, s4, v7, v19, v7
	v_div_fmas_f32 v23, v23, v26, v29
	v_fma_f32 v9, -v20, v15, v9
	v_fmac_f32_e32 v33, v30, v25
	v_fma_f32 v20, -v18, v35, v8
	v_fma_f32 v29, -v34, v31, 1.0
	s_mov_b32 vcc_lo, s1
	v_mul_f32_e32 v26, v36, v32
	v_div_fmas_f32 v9, v9, v28, v15
	v_fma_f32 v15, -v27, v33, v22
	v_fmac_f32_e32 v35, v20, v24
	v_fmac_f32_e32 v31, v29, v31
	v_div_scale_f32 v22, s0, v3, v1, v3
	v_fma_f32 v20, -v11, v26, v36
	v_fma_f32 v8, -v18, v35, v8
	s_mov_b32 vcc_lo, s2
	v_mul_f32_e32 v18, v22, v31
	v_div_fmas_f32 v15, v15, v25, v33
	v_fmac_f32_e32 v26, v20, v32
	s_mov_b32 vcc_lo, s3
	v_add_f32_e32 v14, s18, v14
	v_fma_f32 v20, -v34, v18, v22
	v_div_fmas_f32 v8, v8, v24, v35
	v_fma_f32 v11, -v11, v26, v36
	s_mov_b32 vcc_lo, s4
	v_div_fixup_f32 v5, v9, v19, v5
	v_fmac_f32_e32 v18, v20, v31
	v_div_fixup_f32 v8, v8, v21, v17
	v_div_fmas_f32 v11, v11, v32, v26
	s_mov_b32 vcc_lo, s0
	v_add_f32_e32 v13, s17, v13
	v_fma_f32 v9, -v34, v18, v22
	v_add_f32_e32 v8, v14, v8
	v_div_fixup_f32 v7, v11, v19, v7
	v_add_f32_e32 v12, s16, v12
	v_div_fixup_f32 v11, v23, v1, v16
	v_div_fmas_f32 v9, v9, v31, v18
	v_add_f32_e32 v13, v13, v5
	v_div_fixup_f32 v6, v15, v1, v6
	v_add_f32_e32 v7, v7, v8
	v_cmp_lt_f32_e32 vcc_lo, s14, v10
	v_div_fixup_f32 v8, v9, v1, v3
	v_add_f32_e32 v4, s15, v4
	v_add_f32_e32 v5, v12, v11
	;; [unrolled: 1-line block ×3, first 2 shown]
	v_cndmask_b32_e32 v3, s14, v10, vcc_lo
	v_add_f32_e32 v7, v8, v7
.LBB35_89:
	s_or_b32 s19, s19, exec_lo
.LBB35_90:
	s_or_b32 exec_lo, exec_lo, s5
	s_branch .LBB35_99
.LBB35_91:
	s_cmp_eq_u32 s26, 1
	s_cbranch_scc0 .LBB35_98
; %bb.92:
	s_mov_b32 s23, 0
	s_waitcnt lgkmcnt(4)
	v_mbcnt_lo_u32_b32 v1, -1, 0
	s_lshr_b64 s[0:1], s[8:9], 8
	s_mov_b32 s7, s23
	s_lshl_b32 s22, s6, 8
	s_cmp_lg_u64 s[0:1], s[6:7]
	s_cbranch_scc0 .LBB35_101
; %bb.93:
	s_lshl_b64 s[0:1], s[22:23], 2
	v_lshlrev_b32_e32 v2, 2, v0
	s_add_u32 s0, s20, s0
	s_addc_u32 s1, s21, s1
	global_load_dword v19, v2, s[0:1]
	v_mov_b32_e32 v2, 1.0
	v_mov_b32_dpp v13, v2 quad_perm:[1,0,3,2] row_mask:0xf bank_mask:0xf
	v_mov_b32_e32 v2, 0
	s_waitcnt lgkmcnt(1)
	v_add_f32_e32 v3, 1.0, v13
	v_mov_b32_dpp v17, v2 quad_perm:[1,0,3,2] row_mask:0xf bank_mask:0xf
	v_add_f32_e32 v32, -1.0, v13
	s_waitcnt lgkmcnt(0)
	v_fma_f32 v5, v13, v13, -v13
	v_mul_f32_e32 v6, v13, v13
	v_mul_f32_e32 v12, v3, v3
	v_fma_f32 v33, v13, 0, -v17
	v_add_f32_e32 v9, 0, v17
	v_add_f32_e32 v30, 1.0, v5
	v_fmac_f32_e32 v17, 0, v6
	v_mul_f32_e32 v29, v3, v12
	v_mov_b32_dpp v7, v3 quad_perm:[2,3,0,1] row_mask:0xf bank_mask:0xf
	v_add_f32_e32 v4, v3, v7
	v_mul_f32_e32 v26, v7, v7
	v_sub_f32_e32 v24, v7, v3
	v_mul_f32_e32 v15, v4, v4
	v_fma_f32 v21, -v3, v7, v26
	v_mov_b32_dpp v8, v4 row_ror:4 row_mask:0xf bank_mask:0xf
	v_mul_f32_e32 v23, v4, v15
	v_fmac_f32_e32 v21, v3, v3
	v_add_f32_e32 v5, v4, v8
	v_mul_f32_e32 v20, v8, v8
	v_sub_f32_e32 v31, v8, v4
	v_mul_f32_e32 v11, v5, v5
	v_fma_f32 v28, -v4, v8, v20
	v_mov_b32_dpp v14, v5 row_ror:8 row_mask:0xf bank_mask:0xf
	v_mul_f32_e32 v18, v5, v11
	v_fmac_f32_e32 v28, v4, v4
	v_add_f32_e32 v6, v5, v14
	v_mul_f32_e32 v27, v14, v14
	v_sub_f32_e32 v25, v14, v5
	v_mul_f32_e32 v10, v6, v6
	v_fma_f32 v22, -v5, v14, v27
	ds_swizzle_b32 v16, v6 offset:swizzle(BROADCAST,32,15)
	v_fmac_f32_e32 v22, v5, v5
	s_waitcnt vmcnt(0)
	v_mov_b32_dpp v34, v19 quad_perm:[1,0,3,2] row_mask:0xf bank_mask:0xf
	v_cmp_lt_f32_e32 vcc_lo, v19, v34
	v_sub_f32_e32 v35, v19, v34
	v_cndmask_b32_e32 v36, v34, v19, vcc_lo
	v_cmp_gt_f32_e32 vcc_lo, v19, v34
	v_div_scale_f32 v38, null, v3, v3, v35
	v_mul_f32_e32 v37, v35, v35
	v_mov_b32_dpp v42, v36 quad_perm:[2,3,0,1] row_mask:0xf bank_mask:0xf
	v_cndmask_b32_e32 v19, v34, v19, vcc_lo
	v_rcp_f32_e32 v45, v38
	v_mul_f32_e32 v40, 0x40400000, v35
	v_mul_f32_e32 v41, 4.0, v35
	v_cmp_lt_f32_e64 s0, v36, v42
	v_mov_b32_dpp v43, v19 quad_perm:[2,3,0,1] row_mask:0xf bank_mask:0xf
	v_mul_f32_e32 v44, v35, v37
	v_mul_f32_e32 v46, v37, v13
	;; [unrolled: 1-line block ×3, first 2 shown]
	v_cndmask_b32_e64 v36, v42, v36, s0
	v_cmp_gt_f32_e64 s0, v19, v43
	v_mul_f32_e32 v33, v41, v33
	v_mul_f32_e32 v41, v35, v44
	v_div_scale_f32 v42, null, v3, v3, v46
	v_cndmask_b32_e64 v19, v43, v19, s0
	v_mov_b32_dpp v50, v36 row_ror:4 row_mask:0xf bank_mask:0xf
	v_mul_f32_e32 v44, v44, v13
	v_fma_f32 v52, -v38, v45, 1.0
	v_div_scale_f32 v39, vcc_lo, v35, v3, v35
	v_mov_b32_dpp v51, v19 row_ror:4 row_mask:0xf bank_mask:0xf
	v_cmp_lt_f32_e64 s4, v36, v50
	v_rcp_f32_e32 v53, v42
	v_mul_f32_e32 v44, v32, v44
	v_mul_f32_e32 v13, v41, v13
	v_fmac_f32_e32 v45, v52, v45
	v_cndmask_b32_e64 v32, v50, v36, s4
	v_cmp_gt_f32_e64 s4, v19, v51
	v_mul_f32_e32 v37, 0x40c00000, v37
	v_div_scale_f32 v47, null, v3, v3, v40
	v_mul_f32_e32 v52, v39, v45
	v_cndmask_b32_e64 v19, v51, v19, s4
	v_mul_f32_e32 v51, v30, v13
	v_mov_b32_dpp v13, v32 row_ror:8 row_mask:0xf bank_mask:0xf
	v_mul_f32_e32 v37, v17, v37
	v_div_scale_f32 v17, null, v3, v3, v33
	v_rcp_f32_e32 v54, v47
	v_mov_b32_dpp v58, v19 row_ror:8 row_mask:0xf bank_mask:0xf
	v_fma_f32 v59, -v42, v53, 1.0
	v_fma_f32 v60, -v38, v52, v39
	v_cmp_lt_f32_e64 s5, v32, v13
	v_div_scale_f32 v43, s0, v46, v3, v46
	v_div_scale_f32 v41, null, v12, v12, v37
	v_rcp_f32_e32 v56, v17
	v_div_scale_f32 v36, null, v12, v12, v44
	v_cndmask_b32_e64 v30, v13, v32, s5
	v_fmac_f32_e32 v53, v59, v53
	v_fmac_f32_e32 v52, v60, v45
	v_cmp_gt_f32_e64 s5, v19, v58
	v_rcp_f32_e32 v57, v41
	v_rcp_f32_e32 v32, v36
	v_fma_f32 v59, -v47, v54, 1.0
	v_fma_f32 v38, -v38, v52, v39
	v_cndmask_b32_e64 v13, v58, v19, s5
	v_mul_f32_e32 v19, v43, v53
	v_div_scale_f32 v58, null, v29, v29, v51
	v_div_scale_f32 v48, s1, v40, v3, v40
	v_fma_f32 v39, -v17, v56, 1.0
	v_fmac_f32_e32 v54, v59, v54
	v_fma_f32 v59, -v42, v19, v43
	v_div_fmas_f32 v38, v38, v45, v52
	v_rcp_f32_e32 v45, v58
	v_div_scale_f32 v49, s2, v33, v3, v33
	v_fma_f32 v52, -v41, v57, 1.0
	v_fmac_f32_e32 v56, v39, v56
	v_fma_f32 v39, -v36, v32, 1.0
	v_fmac_f32_e32 v19, v59, v53
	v_mul_f32_e32 v59, v48, v54
	v_div_scale_f32 v55, s3, v37, v12, v37
	v_div_scale_f32 v50, s4, v44, v12, v44
	v_fmac_f32_e32 v57, v52, v57
	v_mul_f32_e32 v52, v49, v56
	v_fmac_f32_e32 v32, v39, v32
	v_fma_f32 v39, -v42, v19, v43
	v_fma_f32 v42, -v47, v59, v48
	v_fma_f32 v43, -v58, v45, 1.0
	s_mov_b32 vcc_lo, s0
	v_div_fixup_f32 v35, v38, v3, v35
	v_div_fmas_f32 v19, v39, v53, v19
	v_mul_f32_e32 v39, v55, v57
	v_fma_f32 v53, -v17, v52, v49
	v_fmac_f32_e32 v59, v42, v54
	v_fmac_f32_e32 v45, v43, v45
	v_mul_f32_e32 v43, v50, v32
	v_div_scale_f32 v38, s0, v51, v29, v51
	v_fmac_f32_e32 v52, v53, v56
	v_fma_f32 v53, -v41, v39, v55
	v_fma_f32 v47, -v47, v59, v48
	;; [unrolled: 1-line block ×3, first 2 shown]
	v_add_f32_e32 v34, v35, v34
	s_mov_b32 vcc_lo, s4
	v_fmac_f32_e32 v39, v53, v57
	v_mul_f32_e32 v53, v38, v45
	v_fmac_f32_e32 v43, v48, v32
	v_div_fixup_f32 v46, v19, v3, v46
	v_fma_f32 v49, -v17, v52, v49
	v_fma_f32 v41, -v41, v39, v55
	;; [unrolled: 1-line block ×4, first 2 shown]
	v_add_f32_e32 v46, v9, v46
	v_mul_f32_e32 v42, v6, v10
	s_waitcnt lgkmcnt(0)
	v_add_f32_e32 v17, v6, v16
	v_fmac_f32_e32 v53, v35, v45
	v_div_fmas_f32 v36, v36, v32, v43
	v_mov_b32_dpp v43, v34 quad_perm:[2,3,0,1] row_mask:0xf bank_mask:0xf
	s_mov_b32 vcc_lo, s1
	v_mul_f32_e32 v48, v16, v16
	v_fma_f32 v38, -v58, v53, v38
	v_div_fmas_f32 v47, v47, v54, v59
	v_sub_f32_e32 v34, v34, v43
	s_mov_b32 vcc_lo, s0
	v_div_fixup_f32 v36, v36, v12, v44
	v_div_fmas_f32 v38, v38, v45, v53
	s_mov_b32 vcc_lo, s3
	v_mul_f32_e32 v45, v34, v34
	v_mul_f32_e32 v50, v3, v34
	v_div_fmas_f32 v39, v41, v57, v39
	s_mov_b32 vcc_lo, s2
	v_mov_b32_dpp v44, v46 quad_perm:[2,3,0,1] row_mask:0xf bank_mask:0xf
	v_div_fixup_f32 v40, v47, v3, v40
	v_div_fmas_f32 v41, v49, v56, v52
	v_div_fixup_f32 v29, v38, v29, v51
	v_mul_f32_e32 v38, v34, v45
	v_div_scale_f32 v47, null, v4, v4, v50
	v_mul_f32_e32 v52, v45, v7
	v_mul_f32_e32 v53, 0x40400000, v34
	v_mul_f32_e32 v54, 4.0, v34
	v_add_f32_e32 v36, v9, v36
	v_add_f32_e32 v51, v46, v44
	v_mul_f32_e32 v55, v3, v44
	v_mul_f32_e32 v44, v12, v44
	v_div_fixup_f32 v12, v39, v12, v37
	v_add_f32_e32 v9, v9, v29
	v_mul_f32_e32 v29, v34, v38
	v_rcp_f32_e32 v34, v47
	v_mul_f32_e32 v37, v3, v52
	v_mul_f32_e32 v45, 0x40c00000, v45
	v_div_fixup_f32 v33, v41, v3, v33
	v_add_f32_e32 v36, v40, v36
	v_fmac_f32_e32 v44, v26, v46
	v_add_f32_e32 v9, v12, v9
	v_div_scale_f32 v26, null, v4, v4, v37
	v_mul_f32_e32 v38, v38, v7
	v_fma_f32 v39, v46, v7, -v55
	v_mov_b32_dpp v12, v36 quad_perm:[2,3,0,1] row_mask:0xf bank_mask:0xf
	v_mul_f32_e32 v29, v29, v7
	v_mul_f32_e32 v41, v45, v44
	v_add_f32_e32 v9, v33, v9
	v_fma_f32 v33, -v47, v34, 1.0
	v_rcp_f32_e32 v44, v26
	v_div_scale_f32 v49, vcc_lo, v50, v4, v50
	v_mul_f32_e32 v38, v3, v38
	v_mul_f32_e32 v39, v53, v39
	v_mul_f32_e32 v29, v3, v29
	v_mul_f32_e32 v3, v3, v12
	v_fmac_f32_e32 v34, v33, v34
	v_add_f32_e32 v45, v36, v12
	v_mul_f32_e32 v24, v24, v38
	v_div_scale_f32 v38, null, v4, v4, v39
	v_div_scale_f32 v52, null, v15, v15, v41
	v_fma_f32 v3, v36, v7, -v3
	v_mul_f32_e32 v7, v49, v34
	v_fma_f32 v36, -v26, v44, 1.0
	v_div_scale_f32 v40, s0, v37, v4, v37
	v_rcp_f32_e32 v55, v38
	v_mul_f32_e32 v21, v21, v29
	v_rcp_f32_e32 v29, v52
	v_mul_f32_e32 v3, v54, v3
	v_fma_f32 v54, -v47, v7, v49
	v_fmac_f32_e32 v44, v36, v44
	v_mov_b32_dpp v12, v9 quad_perm:[2,3,0,1] row_mask:0xf bank_mask:0xf
	v_div_scale_f32 v33, null, v15, v15, v24
	v_fmac_f32_e32 v7, v54, v34
	v_mul_f32_e32 v54, v40, v44
	v_add_f32_e32 v9, v9, v12
	v_rcp_f32_e32 v56, v33
	v_div_scale_f32 v12, null, v23, v23, v21
	v_fma_f32 v36, -v38, v55, 1.0
	v_fma_f32 v58, -v52, v29, 1.0
	v_fma_f32 v47, -v47, v7, v49
	v_fma_f32 v49, -v26, v54, v40
	v_div_scale_f32 v46, s1, v39, v4, v39
	v_rcp_f32_e32 v57, v12
	v_fmac_f32_e32 v55, v36, v55
	v_fmac_f32_e32 v29, v58, v29
	v_div_scale_f32 v58, null, v4, v4, v3
	v_fmac_f32_e32 v54, v49, v44
	v_div_scale_f32 v53, s2, v41, v15, v41
	v_fma_f32 v36, -v33, v56, 1.0
	v_rcp_f32_e32 v49, v58
	v_div_fmas_f32 v7, v47, v34, v7
	v_mul_f32_e32 v34, v46, v55
	v_fma_f32 v26, -v26, v54, v40
	s_mov_b32 vcc_lo, s0
	v_fmac_f32_e32 v56, v36, v56
	v_div_scale_f32 v36, s3, v24, v15, v24
	v_fma_f32 v40, -v12, v57, 1.0
	v_mul_f32_e32 v47, v53, v29
	v_div_fmas_f32 v26, v26, v44, v54
	v_fma_f32 v54, -v38, v34, v46
	v_mul_f32_e32 v44, v36, v56
	v_fmac_f32_e32 v57, v40, v57
	v_fma_f32 v40, -v52, v47, v53
	v_div_fixup_f32 v7, v7, v4, v50
	v_fma_f32 v50, -v58, v49, 1.0
	v_fmac_f32_e32 v34, v54, v55
	v_div_scale_f32 v54, s0, v21, v23, v21
	v_fmac_f32_e32 v47, v40, v29
	v_fma_f32 v40, -v33, v44, v36
	v_fmac_f32_e32 v49, v50, v49
	v_mul_f32_e32 v50, v54, v57
	v_add_f32_e32 v7, v7, v43
	v_div_scale_f32 v43, s4, v3, v4, v3
	v_fmac_f32_e32 v44, v40, v56
	v_fma_f32 v38, -v38, v34, v46
	v_fma_f32 v46, -v12, v50, v54
	;; [unrolled: 1-line block ×3, first 2 shown]
	v_mul_f32_e32 v53, v43, v49
	v_fma_f32 v33, -v33, v44, v36
	s_mov_b32 vcc_lo, s3
	v_fmac_f32_e32 v50, v46, v57
	v_mov_b32_dpp v46, v7 row_ror:4 row_mask:0xf bank_mask:0xf
	v_fma_f32 v36, -v58, v53, v43
	v_div_fixup_f32 v26, v26, v4, v37
	v_div_fmas_f32 v33, v33, v56, v44
	v_fma_f32 v12, -v12, v50, v54
	v_sub_f32_e32 v7, v7, v46
	v_fmac_f32_e32 v53, v36, v49
	s_mov_b32 vcc_lo, s1
	v_add_f32_e32 v26, v51, v26
	v_div_fmas_f32 v34, v38, v55, v34
	s_mov_b32 vcc_lo, s0
	v_div_fixup_f32 v24, v33, v15, v24
	v_div_fmas_f32 v12, v12, v57, v50
	v_fma_f32 v33, -v58, v53, v43
	v_mul_f32_e32 v43, v4, v7
	s_mov_b32 vcc_lo, s2
	v_mov_b32_dpp v36, v26 row_ror:4 row_mask:0xf bank_mask:0xf
	v_div_fmas_f32 v29, v52, v29, v47
	s_mov_b32 vcc_lo, s4
	v_mul_f32_e32 v38, v7, v7
	v_div_fixup_f32 v12, v12, v23, v21
	v_div_fmas_f32 v21, v33, v49, v53
	v_div_scale_f32 v33, null, v5, v5, v43
	v_div_fixup_f32 v34, v34, v4, v39
	v_add_f32_e32 v24, v45, v24
	v_mul_f32_e32 v23, v7, v38
	v_add_f32_e32 v45, v26, v36
	v_mul_f32_e32 v47, v38, v8
	v_mul_f32_e32 v49, v4, v36
	;; [unrolled: 1-line block ×3, first 2 shown]
	v_div_fixup_f32 v15, v29, v15, v41
	v_add_f32_e32 v9, v9, v12
	v_rcp_f32_e32 v12, v33
	v_mul_f32_e32 v44, 0x40400000, v7
	v_mul_f32_e32 v50, 4.0, v7
	v_add_f32_e32 v24, v34, v24
	v_div_fixup_f32 v3, v21, v4, v3
	v_mul_f32_e32 v7, v7, v23
	v_mul_f32_e32 v21, v4, v47
	v_mul_f32_e32 v23, v23, v8
	v_fma_f32 v29, v26, v8, -v49
	v_add_f32_e32 v9, v15, v9
	v_mul_f32_e32 v38, 0x40c00000, v38
	v_fmac_f32_e32 v36, v20, v26
	v_mov_b32_dpp v15, v24 row_ror:4 row_mask:0xf bank_mask:0xf
	v_div_scale_f32 v20, null, v5, v5, v21
	v_mul_f32_e32 v23, v4, v23
	v_mul_f32_e32 v29, v44, v29
	;; [unrolled: 1-line block ×3, first 2 shown]
	v_add_f32_e32 v3, v3, v9
	v_fma_f32 v9, -v33, v12, 1.0
	v_div_scale_f32 v39, vcc_lo, v43, v5, v43
	v_mul_f32_e32 v34, v38, v36
	v_rcp_f32_e32 v36, v20
	v_mul_f32_e32 v23, v31, v23
	v_div_scale_f32 v31, null, v5, v5, v29
	v_mul_f32_e32 v7, v4, v7
	v_mul_f32_e32 v4, v4, v15
	v_fmac_f32_e32 v12, v9, v12
	v_add_f32_e32 v38, v24, v15
	v_div_scale_f32 v44, null, v11, v11, v34
	v_mov_b32_dpp v15, v3 row_ror:4 row_mask:0xf bank_mask:0xf
	v_div_scale_f32 v9, null, v11, v11, v23
	v_rcp_f32_e32 v51, v31
	v_mul_f32_e32 v7, v28, v7
	v_fma_f32 v4, v24, v8, -v4
	v_mul_f32_e32 v8, v39, v12
	v_rcp_f32_e32 v28, v44
	v_fma_f32 v24, -v20, v36, 1.0
	v_rcp_f32_e32 v52, v9
	v_add_f32_e32 v3, v3, v15
	v_div_scale_f32 v15, null, v18, v18, v7
	v_mul_f32_e32 v4, v50, v4
	v_fma_f32 v50, -v33, v8, v39
	v_div_scale_f32 v26, s0, v21, v5, v21
	v_fmac_f32_e32 v36, v24, v36
	v_fma_f32 v24, -v31, v51, 1.0
	v_rcp_f32_e32 v54, v15
	v_div_scale_f32 v56, null, v5, v5, v4
	v_fmac_f32_e32 v8, v50, v12
	v_div_scale_f32 v41, s1, v29, v5, v29
	v_fma_f32 v55, -v44, v28, 1.0
	v_mul_f32_e32 v50, v26, v36
	v_fma_f32 v58, -v9, v52, 1.0
	v_fmac_f32_e32 v51, v24, v51
	v_rcp_f32_e32 v24, v56
	v_fma_f32 v33, -v33, v8, v39
	v_div_scale_f32 v49, s3, v23, v11, v23
	v_fmac_f32_e32 v28, v55, v28
	v_fma_f32 v39, -v20, v50, v26
	v_fmac_f32_e32 v52, v58, v52
	v_mul_f32_e32 v55, v41, v51
	v_fma_f32 v58, -v15, v54, 1.0
	v_div_fmas_f32 v8, v33, v12, v8
	v_div_scale_f32 v53, s4, v7, v18, v7
	v_fmac_f32_e32 v50, v39, v36
	v_mul_f32_e32 v33, v49, v52
	v_fma_f32 v39, -v31, v55, v41
	v_fmac_f32_e32 v54, v58, v54
	v_div_fixup_f32 v8, v8, v5, v43
	v_fma_f32 v43, -v56, v24, 1.0
	v_div_scale_f32 v47, s2, v34, v11, v34
	v_div_scale_f32 v57, s5, v4, v5, v4
	v_fma_f32 v20, -v20, v50, v26
	v_fma_f32 v26, -v9, v33, v49
	v_fmac_f32_e32 v55, v39, v51
	v_mul_f32_e32 v39, v53, v54
	v_fmac_f32_e32 v24, v43, v24
	v_mul_f32_e32 v12, v47, v28
	s_mov_b32 vcc_lo, s0
	v_add_f32_e32 v8, v8, v46
	v_div_fmas_f32 v20, v20, v36, v50
	v_fmac_f32_e32 v33, v26, v52
	v_fma_f32 v26, -v31, v55, v41
	v_fma_f32 v31, -v15, v39, v53
	v_mul_f32_e32 v36, v57, v24
	v_fma_f32 v58, -v44, v12, v47
	v_div_fixup_f32 v20, v20, v5, v21
	v_fma_f32 v9, -v9, v33, v49
	v_fmac_f32_e32 v39, v31, v54
	v_fma_f32 v21, -v56, v36, v57
	v_mov_b32_dpp v31, v8 row_ror:8 row_mask:0xf bank_mask:0xf
	v_fmac_f32_e32 v12, v58, v28
	s_mov_b32 vcc_lo, s3
	v_add_f32_e32 v20, v45, v20
	v_div_fmas_f32 v9, v9, v52, v33
	v_fma_f32 v15, -v15, v39, v53
	v_fmac_f32_e32 v36, v21, v24
	v_sub_f32_e32 v8, v8, v31
	s_mov_b32 vcc_lo, s1
	v_fma_f32 v41, -v44, v12, v47
	v_div_fmas_f32 v21, v26, v51, v55
	s_mov_b32 vcc_lo, s4
	v_div_fixup_f32 v9, v9, v11, v23
	v_div_fmas_f32 v15, v15, v54, v39
	v_fma_f32 v23, -v56, v36, v57
	v_mov_b32_dpp v26, v20 row_ror:8 row_mask:0xf bank_mask:0xf
	v_mul_f32_e32 v33, v8, v8
	v_mul_f32_e32 v39, v5, v8
	s_mov_b32 vcc_lo, s2
	v_div_fixup_f32 v21, v21, v5, v29
	v_div_fmas_f32 v12, v41, v28, v12
	s_mov_b32 vcc_lo, s5
	v_div_fixup_f32 v7, v15, v18, v7
	v_div_fmas_f32 v15, v23, v24, v36
	v_mul_f32_e32 v18, v8, v33
	v_div_scale_f32 v23, null, v6, v6, v39
	v_mul_f32_e32 v29, v33, v14
	v_mul_f32_e32 v36, v5, v26
	;; [unrolled: 1-line block ×3, first 2 shown]
	v_mul_f32_e32 v44, 4.0, v8
	v_add_f32_e32 v9, v38, v9
	v_add_f32_e32 v28, v20, v26
	v_mul_f32_e32 v26, v11, v26
	v_div_fixup_f32 v11, v12, v11, v34
	v_add_f32_e32 v3, v3, v7
	v_div_fixup_f32 v4, v15, v5, v4
	v_mul_f32_e32 v7, v8, v18
	v_rcp_f32_e32 v8, v23
	v_mul_f32_e32 v12, v5, v29
	v_mul_f32_e32 v15, v18, v14
	v_fma_f32 v18, v20, v14, -v36
	v_mul_f32_e32 v33, 0x40c00000, v33
	v_add_f32_e32 v9, v21, v9
	v_fmac_f32_e32 v26, v27, v20
	v_add_f32_e32 v3, v11, v3
	v_div_scale_f32 v20, null, v6, v6, v12
	v_mul_f32_e32 v15, v5, v15
	v_mul_f32_e32 v18, v43, v18
	;; [unrolled: 1-line block ×3, first 2 shown]
	v_mov_b32_dpp v11, v9 row_ror:8 row_mask:0xf bank_mask:0xf
	v_mul_f32_e32 v26, v33, v26
	v_add_f32_e32 v3, v4, v3
	v_fma_f32 v4, -v23, v8, 1.0
	v_rcp_f32_e32 v27, v20
	v_mul_f32_e32 v15, v25, v15
	v_div_scale_f32 v25, null, v6, v6, v18
	v_mul_f32_e32 v7, v5, v7
	v_div_scale_f32 v24, vcc_lo, v39, v6, v39
	v_add_f32_e32 v29, v9, v11
	v_div_scale_f32 v34, null, v10, v10, v26
	v_mul_f32_e32 v5, v5, v11
	v_mov_b32_dpp v11, v3 row_ror:8 row_mask:0xf bank_mask:0xf
	v_fmac_f32_e32 v8, v4, v8
	v_div_scale_f32 v4, null, v10, v10, v15
	v_rcp_f32_e32 v41, v25
	v_mul_f32_e32 v7, v22, v7
	v_rcp_f32_e32 v22, v34
	v_fma_f32 v5, v9, v14, -v5
	v_mul_f32_e32 v9, v24, v8
	v_fma_f32 v14, -v20, v27, 1.0
	v_rcp_f32_e32 v43, v4
	v_add_f32_e32 v3, v3, v11
	v_div_scale_f32 v11, null, v42, v42, v7
	v_div_scale_f32 v21, s0, v12, v6, v12
	v_mul_f32_e32 v5, v44, v5
	v_fma_f32 v44, -v23, v9, v24
	v_fmac_f32_e32 v27, v14, v27
	v_fma_f32 v14, -v25, v41, 1.0
	v_rcp_f32_e32 v46, v11
	v_div_scale_f32 v33, s1, v18, v6, v18
	v_fma_f32 v47, -v34, v22, 1.0
	v_div_scale_f32 v49, null, v6, v6, v5
	v_fmac_f32_e32 v9, v44, v8
	v_mul_f32_e32 v44, v21, v27
	v_fma_f32 v51, -v4, v43, 1.0
	v_fmac_f32_e32 v41, v14, v41
	v_div_scale_f32 v36, s2, v26, v10, v26
	v_div_scale_f32 v38, s3, v15, v10, v15
	v_fmac_f32_e32 v22, v47, v22
	v_rcp_f32_e32 v14, v49
	v_fma_f32 v23, -v23, v9, v24
	v_fma_f32 v24, -v20, v44, v21
	v_fmac_f32_e32 v43, v51, v43
	v_mul_f32_e32 v47, v33, v41
	v_fma_f32 v51, -v11, v46, 1.0
	v_div_scale_f32 v45, s4, v7, v42, v7
	v_mul_f32_e32 v52, v36, v22
	v_div_fmas_f32 v8, v23, v8, v9
	v_fmac_f32_e32 v44, v24, v27
	v_mul_f32_e32 v9, v38, v43
	v_fma_f32 v23, -v25, v47, v33
	v_fmac_f32_e32 v46, v51, v46
	v_fma_f32 v24, -v34, v52, v36
	v_fma_f32 v51, -v49, v14, 1.0
	v_div_fixup_f32 v8, v8, v6, v39
	v_fma_f32 v20, -v20, v44, v21
	v_fma_f32 v21, -v4, v9, v38
	v_fmac_f32_e32 v47, v23, v41
	v_mul_f32_e32 v23, v45, v46
	v_div_scale_f32 v50, s5, v5, v6, v5
	v_fmac_f32_e32 v52, v24, v22
	v_fmac_f32_e32 v14, v51, v14
	v_add_f32_e32 v8, v8, v31
	v_fmac_f32_e32 v9, v21, v43
	v_fma_f32 v24, -v11, v23, v45
	s_mov_b32 vcc_lo, s0
	v_fma_f32 v21, -v25, v47, v33
	v_div_fmas_f32 v20, v20, v27, v44
	v_mul_f32_e32 v25, v50, v14
	v_fma_f32 v4, -v4, v9, v38
	v_fmac_f32_e32 v23, v24, v46
	ds_swizzle_b32 v24, v8 offset:swizzle(BROADCAST,32,15)
	s_mov_b32 vcc_lo, s3
	v_div_fixup_f32 v12, v20, v6, v12
	v_fma_f32 v20, -v49, v25, v50
	v_div_fmas_f32 v4, v4, v43, v9
	v_fma_f32 v9, -v11, v23, v45
	s_mov_b32 vcc_lo, s1
	v_fma_f32 v27, -v34, v52, v36
	v_div_fmas_f32 v11, v21, v41, v47
	s_mov_b32 vcc_lo, s4
	v_add_f32_e32 v12, v28, v12
	v_fmac_f32_e32 v25, v20, v14
	v_div_fmas_f32 v9, v9, v46, v23
	s_mov_b32 vcc_lo, s2
	v_div_fixup_f32 v4, v4, v10, v15
	ds_swizzle_b32 v20, v12 offset:swizzle(BROADCAST,32,15)
	v_fma_f32 v15, -v49, v25, v50
	v_div_fixup_f32 v11, v11, v6, v18
	v_div_fmas_f32 v18, v27, v22, v52
	v_div_fixup_f32 v7, v9, v42, v7
	s_mov_b32 vcc_lo, s5
	v_add_f32_e32 v4, v29, v4
	v_div_fmas_f32 v9, v15, v14, v25
	v_div_fixup_f32 v14, v18, v10, v26
	v_add_f32_e32 v3, v3, v7
	s_waitcnt lgkmcnt(1)
	v_sub_f32_e32 v7, v8, v24
	ds_swizzle_b32 v40, v30 offset:swizzle(BROADCAST,32,15)
	v_add_f32_e32 v4, v11, v4
	v_div_fixup_f32 v5, v9, v6, v5
	v_add_f32_e32 v3, v14, v3
	v_mul_f32_e32 v9, v7, v7
	v_mul_f32_e32 v14, v6, v7
	ds_swizzle_b32 v8, v4 offset:swizzle(BROADCAST,32,15)
	v_mul_f32_e32 v15, 0x40400000, v7
	v_add_f32_e32 v3, v5, v3
	v_mul_f32_e32 v5, v7, v9
	v_div_scale_f32 v21, null, v17, v17, v14
	v_mul_f32_e32 v18, 4.0, v7
	v_mul_f32_e32 v23, v9, v16
	s_waitcnt lgkmcnt(2)
	v_mul_f32_e32 v25, v6, v20
	v_mul_f32_e32 v10, v10, v20
	;; [unrolled: 1-line block ×3, first 2 shown]
	v_rcp_f32_e32 v27, v21
	v_mul_f32_e32 v5, v5, v16
	v_sub_f32_e32 v60, v16, v6
	v_fma_f32 v35, -v6, v16, v48
	v_mul_f32_e32 v9, 0x40c00000, v9
	v_mul_f32_e32 v23, v6, v23
	v_fma_f32 v25, v12, v16, -v25
	v_fmac_f32_e32 v10, v48, v12
	v_mul_f32_e32 v5, v6, v5
	v_mul_f32_e32 v7, v7, v16
	;; [unrolled: 1-line block ×3, first 2 shown]
	v_fmac_f32_e32 v35, v6, v6
	s_waitcnt lgkmcnt(1)
	v_cmp_lt_f32_e32 vcc_lo, v30, v40
	v_div_scale_f32 v28, null, v17, v17, v23
	v_mul_f32_e32 v15, v15, v25
	v_mul_f32_e32 v9, v9, v10
	v_fma_f32 v10, -v21, v27, 1.0
	v_mul_f32_e32 v5, v60, v5
	v_mul_f32_e32 v7, v6, v7
	;; [unrolled: 1-line block ×3, first 2 shown]
	v_cndmask_b32_e32 v11, v40, v30, vcc_lo
	v_div_scale_f32 v22, vcc_lo, v14, v17, v14
	v_rcp_f32_e32 v25, v28
	v_div_scale_f32 v30, null, v17, v17, v15
	s_waitcnt lgkmcnt(0)
	v_mul_f32_e32 v6, v6, v8
	v_fmac_f32_e32 v27, v10, v27
	v_div_scale_f32 v10, null, v19, v19, v5
	v_mul_f32_e32 v7, v35, v7
	v_div_scale_f32 v33, null, v19, v19, v9
	v_rcp_f32_e32 v38, v30
	v_fma_f32 v6, v4, v16, -v6
	v_mul_f32_e32 v16, v22, v27
	v_rcp_f32_e32 v40, v10
	v_div_scale_f32 v41, null, v32, v32, v7
	v_rcp_f32_e32 v35, v33
	v_fma_f32 v39, -v28, v25, 1.0
	v_mul_f32_e32 v6, v18, v6
	v_fma_f32 v18, -v21, v16, v22
	v_rcp_f32_e32 v43, v41
	v_div_scale_f32 v29, s0, v23, v17, v23
	v_fmac_f32_e32 v25, v39, v25
	v_fma_f32 v39, -v30, v38, 1.0
	v_div_scale_f32 v45, null, v17, v17, v6
	v_fmac_f32_e32 v16, v18, v27
	v_fma_f32 v46, -v10, v40, 1.0
	v_div_scale_f32 v31, s1, v15, v17, v15
	v_div_scale_f32 v36, s3, v5, v19, v5
	v_fma_f32 v44, -v33, v35, 1.0
	v_mul_f32_e32 v18, v29, v25
	v_fmac_f32_e32 v38, v39, v38
	v_rcp_f32_e32 v39, v45
	v_fma_f32 v21, -v21, v16, v22
	v_fmac_f32_e32 v40, v46, v40
	v_fma_f32 v46, -v41, v43, 1.0
	v_div_scale_f32 v42, s4, v7, v32, v7
	v_fmac_f32_e32 v35, v44, v35
	v_fma_f32 v22, -v28, v18, v29
	v_mul_f32_e32 v44, v31, v38
	v_div_fmas_f32 v16, v21, v27, v16
	v_mul_f32_e32 v21, v36, v40
	v_fmac_f32_e32 v43, v46, v43
	v_div_scale_f32 v34, s2, v9, v19, v9
	v_fmac_f32_e32 v18, v22, v25
	v_fma_f32 v22, -v30, v44, v31
	v_fma_f32 v46, -v45, v39, 1.0
	v_div_fixup_f32 v14, v16, v17, v14
	v_fma_f32 v16, -v10, v21, v36
	v_mul_f32_e32 v48, v42, v43
	ds_swizzle_b32 v26, v3 offset:swizzle(BROADCAST,32,15)
	v_mul_f32_e32 v47, v34, v35
	v_fma_f32 v28, -v28, v18, v29
	v_fmac_f32_e32 v44, v22, v38
	v_fmac_f32_e32 v39, v46, v39
	;; [unrolled: 1-line block ×3, first 2 shown]
	v_fma_f32 v16, -v41, v48, v42
	v_div_scale_f32 v22, s5, v6, v17, v6
	s_mov_b32 vcc_lo, s0
	v_fma_f32 v27, -v33, v47, v34
	v_div_fmas_f32 v18, v28, v25, v18
	v_fma_f32 v10, -v10, v21, v36
	v_fmac_f32_e32 v48, v16, v43
	v_mul_f32_e32 v25, v22, v39
	v_fma_f32 v16, -v30, v44, v31
	s_mov_b32 vcc_lo, s3
	ds_swizzle_b32 v37, v13 offset:swizzle(BROADCAST,32,15)
	v_div_fmas_f32 v10, v10, v40, v21
	v_fma_f32 v21, -v41, v48, v42
	v_fmac_f32_e32 v47, v27, v35
	v_fma_f32 v27, -v45, v25, v22
	s_mov_b32 vcc_lo, s1
	v_add_f32_e32 v12, v12, v20
	v_div_fmas_f32 v16, v16, v38, v44
	s_mov_b32 vcc_lo, s4
	v_fma_f32 v20, -v33, v47, v34
	v_div_fmas_f32 v21, v21, v43, v48
	v_fmac_f32_e32 v25, v27, v39
	s_mov_b32 vcc_lo, s2
	s_waitcnt lgkmcnt(1)
	v_add_f32_e32 v3, v3, v26
	v_div_fmas_f32 v20, v20, v35, v47
	v_div_fixup_f32 v7, v21, v32, v7
	v_add_f32_e32 v4, v4, v8
	v_fma_f32 v8, -v45, v25, v22
	s_mov_b32 vcc_lo, s5
	v_div_fixup_f32 v5, v10, v19, v5
	v_add_f32_e32 v3, v3, v7
	v_div_fixup_f32 v7, v20, v19, v9
	v_div_fmas_f32 v8, v8, v39, v25
	v_div_fixup_f32 v9, v18, v17, v23
	v_add_f32_e32 v4, v4, v5
	v_div_fixup_f32 v5, v16, v17, v15
	v_add_f32_e32 v3, v7, v3
	v_div_fixup_f32 v6, v8, v17, v6
	s_waitcnt lgkmcnt(0)
	v_cmp_gt_f32_e32 vcc_lo, v13, v37
	v_add_f32_e32 v12, v12, v9
	v_add_f32_e32 v4, v5, v4
	ds_bpermute_b32 v8, v2, v17 offset:124
	v_add_f32_e32 v3, v6, v3
	v_cndmask_b32_e32 v7, v37, v13, vcc_lo
	v_add_f32_e32 v13, v14, v24
	ds_bpermute_b32 v9, v2, v11 offset:124
	ds_bpermute_b32 v12, v2, v12 offset:124
	;; [unrolled: 1-line block ×6, first 2 shown]
	s_mov_b32 s0, exec_lo
	v_cmpx_eq_u32_e32 0, v1
	s_cbranch_execz .LBB35_95
; %bb.94:
	v_lshrrev_b32_e32 v2, 5, v0
	v_mul_u32_u24_e32 v2, 28, v2
	s_waitcnt lgkmcnt(5)
	ds_write2_b32 v2, v8, v9 offset0:56 offset1:57
	s_waitcnt lgkmcnt(2)
	ds_write2_b32 v2, v10, v11 offset0:58 offset1:59
	;; [unrolled: 2-line block ×3, first 2 shown]
	ds_write_b32 v2, v14 offset:248
.LBB35_95:
	s_or_b32 exec_lo, exec_lo, s0
	s_mov_b32 s4, exec_lo
	s_waitcnt lgkmcnt(0)
	s_barrier
	buffer_gl0_inv
	v_cmpx_gt_u32_e32 32, v0
	s_cbranch_execz .LBB35_97
; %bb.96:
	v_and_b32_e32 v8, 7, v1
	v_lshlrev_b32_e32 v17, 2, v1
	v_mul_u32_u24_e32 v9, 28, v8
	v_cmp_ne_u32_e32 vcc_lo, 7, v8
	v_or_b32_e32 v17, 16, v17
	ds_read2_b32 v[2:3], v9 offset0:56 offset1:57
	ds_read2_b32 v[4:5], v9 offset0:58 offset1:59
	;; [unrolled: 1-line block ×3, first 2 shown]
	v_add_co_ci_u32_e64 v10, null, 0, v1, vcc_lo
	v_cmp_gt_u32_e32 vcc_lo, 6, v8
	ds_read_b32 v9, v9 offset:248
	v_lshlrev_b32_e32 v10, 2, v10
	v_cndmask_b32_e64 v8, 0, 2, vcc_lo
	v_add_lshl_u32 v8, v8, v1, 2
	s_waitcnt lgkmcnt(3)
	ds_bpermute_b32 v13, v10, v3
	s_waitcnt lgkmcnt(3)
	ds_bpermute_b32 v12, v10, v5
	ds_bpermute_b32 v14, v10, v4
	;; [unrolled: 1-line block ×3, first 2 shown]
	s_waitcnt lgkmcnt(5)
	ds_bpermute_b32 v15, v10, v6
	ds_bpermute_b32 v16, v10, v7
	v_mul_f32_e32 v18, v2, v2
	s_waitcnt lgkmcnt(6)
	ds_bpermute_b32 v10, v10, v9
	s_waitcnt lgkmcnt(6)
	v_cmp_gt_f32_e32 vcc_lo, v3, v13
	s_waitcnt lgkmcnt(5)
	v_sub_f32_e32 v12, v12, v5
	s_waitcnt lgkmcnt(3)
	v_add_f32_e32 v19, v2, v11
	v_mul_f32_e32 v21, v6, v11
	v_cndmask_b32_e32 v3, v3, v13, vcc_lo
	v_cmp_lt_f32_e32 vcc_lo, v4, v14
	v_fma_f32 v22, -v2, v11, v18
	v_mul_f32_e32 v23, v11, v11
	s_waitcnt lgkmcnt(2)
	v_mul_f32_e32 v18, v18, v15
	v_mul_f32_e32 v25, v12, v12
	v_cndmask_b32_e32 v4, v4, v14, vcc_lo
	s_waitcnt lgkmcnt(1)
	v_add_f32_e32 v14, v7, v16
	v_mul_f32_e32 v7, v7, v11
	v_mul_f32_e32 v26, v12, v11
	v_add_f32_e32 v13, v6, v15
	v_fma_f32 v15, v2, v15, -v21
	v_fmac_f32_e32 v18, v6, v23
	v_mul_f32_e32 v6, 4.0, v12
	v_fma_f32 v7, v2, v16, -v7
	v_mul_f32_e32 v21, v12, v25
	v_div_scale_f32 v23, null, v19, v19, v26
	v_mul_f32_e32 v27, 0x40400000, v12
	v_mul_f32_e32 v29, v2, v25
	;; [unrolled: 1-line block ×4, first 2 shown]
	v_rcp_f32_e32 v12, v23
	v_mul_f32_e32 v15, v27, v15
	v_mul_f32_e32 v27, v29, v11
	v_mul_f32_e32 v21, v2, v21
	v_sub_f32_e32 v20, v2, v11
	v_mul_f32_e32 v2, v2, v7
	v_mul_f32_e32 v24, v19, v19
	v_div_scale_f32 v31, null, v19, v19, v27
	v_mul_f32_e32 v21, v21, v11
	v_fma_f32 v34, -v23, v12, 1.0
	v_fmac_f32_e32 v22, v11, v11
	v_div_scale_f32 v28, vcc_lo, v26, v19, v26
	v_rcp_f32_e32 v7, v31
	v_mul_f32_e32 v20, v20, v21
	v_mul_f32_e32 v2, v2, v11
	v_fmac_f32_e32 v12, v34, v12
	v_div_scale_f32 v29, null, v19, v19, v15
	v_div_scale_f32 v35, null, v24, v24, v20
	v_mul_f32_e32 v2, v22, v2
	v_mul_f32_e32 v22, v28, v12
	v_fma_f32 v34, -v31, v7, 1.0
	v_rcp_f32_e32 v36, v35
	v_div_scale_f32 v32, s1, v27, v19, v27
	v_fma_f32 v39, -v23, v22, v28
	v_rcp_f32_e32 v33, v29
	v_fmac_f32_e32 v7, v34, v7
	v_mul_f32_e32 v16, v19, v24
	v_div_scale_f32 v37, s2, v20, v24, v20
	v_fmac_f32_e32 v22, v39, v12
	v_mul_f32_e32 v40, v32, v7
	v_fma_f32 v41, -v35, v36, 1.0
	v_mul_f32_e32 v25, 0x40c00000, v25
	v_div_scale_f32 v30, s0, v15, v19, v15
	v_fma_f32 v23, -v23, v22, v28
	v_fma_f32 v34, -v29, v33, 1.0
	v_fma_f32 v39, -v31, v40, v32
	v_fmac_f32_e32 v36, v41, v36
	v_div_scale_f32 v38, null, v16, v16, v2
	v_div_fmas_f32 v12, v23, v12, v22
	v_fmac_f32_e32 v33, v34, v33
	v_fmac_f32_e32 v40, v39, v7
	v_mul_f32_e32 v28, v37, v36
	v_mul_f32_e32 v18, v25, v18
	v_div_fixup_f32 v12, v12, v19, v26
	v_rcp_f32_e32 v34, v38
	v_mul_f32_e32 v22, v30, v33
	v_fma_f32 v31, -v31, v40, v32
	v_fma_f32 v32, -v35, v28, v37
	v_add_f32_e32 v5, v5, v12
	s_mov_b32 vcc_lo, s1
	v_div_scale_f32 v21, null, v24, v24, v18
	v_div_fmas_f32 v7, v31, v7, v40
	v_fmac_f32_e32 v28, v32, v36
	v_fma_f32 v26, -v29, v22, v30
	ds_bpermute_b32 v31, v8, v5
	v_div_scale_f32 v25, null, v19, v19, v6
	v_rcp_f32_e32 v11, v21
	v_fma_f32 v23, -v38, v34, 1.0
	v_fma_f32 v12, -v35, v28, v37
	v_fmac_f32_e32 v22, v26, v33
	ds_bpermute_b32 v26, v8, v19
	s_mov_b32 vcc_lo, s2
	v_div_scale_f32 v41, s3, v2, v16, v2
	v_fmac_f32_e32 v34, v23, v34
	v_div_fixup_f32 v7, v7, v19, v27
	v_rcp_f32_e32 v27, v25
	v_div_fmas_f32 v12, v12, v36, v28
	v_fma_f32 v23, -v21, v11, 1.0
	v_mul_f32_e32 v28, v41, v34
	s_mov_b32 vcc_lo, s0
	s_waitcnt lgkmcnt(2)
	v_add_f32_e32 v9, v9, v10
	v_div_fixup_f32 v12, v12, v24, v20
	v_fma_f32 v20, -v29, v22, v30
	v_fmac_f32_e32 v11, v23, v11
	v_div_scale_f32 v23, s1, v18, v24, v18
	v_fma_f32 v32, -v25, v27, 1.0
	v_fma_f32 v29, -v38, v28, v41
	v_div_fmas_f32 v20, v20, v33, v22
	s_waitcnt lgkmcnt(1)
	v_sub_f32_e32 v22, v31, v5
	v_mul_f32_e32 v30, v23, v11
	v_fmac_f32_e32 v27, v32, v27
	v_div_scale_f32 v32, s2, v6, v19, v6
	v_fmac_f32_e32 v28, v29, v34
	s_waitcnt lgkmcnt(0)
	v_add_f32_e32 v33, v19, v26
	v_mul_f32_e32 v35, v22, v26
	v_fma_f32 v29, -v21, v30, v23
	v_mul_f32_e32 v31, v32, v27
	v_fma_f32 v36, -v38, v28, v41
	s_mov_b32 vcc_lo, s3
	v_div_scale_f32 v37, null, v33, v33, v35
	v_fmac_f32_e32 v30, v29, v11
	v_fma_f32 v29, -v25, v31, v32
	v_div_fmas_f32 v28, v36, v34, v28
	v_rcp_f32_e32 v10, v37
	s_mov_b32 vcc_lo, s1
	v_fma_f32 v21, -v21, v30, v23
	v_fmac_f32_e32 v31, v29, v27
	v_div_fixup_f32 v2, v28, v16, v2
	v_add_f32_e32 v12, v14, v12
	v_div_fixup_f32 v15, v20, v19, v15
	v_div_fmas_f32 v11, v21, v11, v30
	v_fma_f32 v16, -v25, v31, v32
	v_add_f32_e32 v2, v9, v2
	v_fma_f32 v21, -v37, v10, 1.0
	v_mul_f32_e32 v9, v22, v22
	s_mov_b32 vcc_lo, s2
	v_div_fixup_f32 v11, v11, v24, v18
	v_div_fmas_f32 v16, v16, v27, v31
	v_fmac_f32_e32 v10, v21, v10
	v_div_scale_f32 v14, vcc_lo, v35, v33, v35
	v_mul_f32_e32 v18, v19, v9
	v_add_f32_e32 v2, v11, v2
	v_div_fixup_f32 v6, v16, v19, v6
	v_mul_f32_e32 v11, v14, v10
	v_add_f32_e32 v7, v13, v7
	v_mul_f32_e32 v13, v18, v26
	v_add_f32_e32 v12, v15, v12
	v_add_f32_e32 v2, v6, v2
	v_fma_f32 v6, -v37, v11, v14
	ds_bpermute_b32 v20, v8, v7
	v_div_scale_f32 v15, null, v33, v33, v13
	v_mul_f32_e32 v21, v22, v9
	v_fmac_f32_e32 v11, v6, v10
	ds_bpermute_b32 v16, v8, v3
	v_rcp_f32_e32 v6, v15
	v_mul_f32_e32 v30, 0x40400000, v22
	v_mul_f32_e32 v27, v19, v21
	v_fma_f32 v14, -v37, v11, v14
	v_mul_f32_e32 v21, v22, v21
	v_mul_f32_e32 v25, v33, v33
	ds_bpermute_b32 v23, v8, v12
	v_mul_f32_e32 v9, 0x40c00000, v9
	v_div_fmas_f32 v10, v14, v10, v11
	v_mul_f32_e32 v14, v27, v26
	v_fma_f32 v11, -v15, v6, 1.0
	v_sub_f32_e32 v27, v19, v26
	v_mul_f32_e32 v21, v19, v21
	v_div_fixup_f32 v10, v10, v33, v35
	v_mul_f32_e32 v28, v33, v25
	v_fmac_f32_e32 v6, v11, v6
	v_mul_f32_e32 v11, v27, v14
	v_mul_f32_e32 v14, v7, v26
	v_div_scale_f32 v27, vcc_lo, v13, v33, v13
	v_add_f32_e32 v5, v5, v10
	v_div_scale_f32 v29, null, v25, v25, v11
	s_waitcnt lgkmcnt(2)
	v_fma_f32 v14, v19, v20, -v14
	v_mul_f32_e32 v10, v27, v6
	s_waitcnt lgkmcnt(1)
	v_cmp_gt_f32_e64 s0, v3, v16
	v_mul_f32_e32 v21, v21, v26
	v_add_f32_e32 v34, v7, v20
	v_mul_f32_e32 v14, v30, v14
	v_fma_f32 v30, -v19, v26, v24
	v_fma_f32 v31, -v15, v10, v27
	v_cndmask_b32_e64 v3, v3, v16, s0
	v_rcp_f32_e32 v16, v29
	v_mul_f32_e32 v20, v24, v20
	v_fmac_f32_e32 v30, v26, v26
	v_fmac_f32_e32 v10, v31, v6
	v_div_scale_f32 v32, null, v33, v33, v14
	v_div_scale_f32 v24, s0, v11, v25, v11
	v_mul_f32_e32 v21, v30, v21
	v_fma_f32 v15, -v15, v10, v27
	v_mul_f32_e32 v27, v26, v26
	v_fma_f32 v31, -v29, v16, 1.0
	v_rcp_f32_e32 v35, v32
	v_div_scale_f32 v30, null, v28, v28, v21
	v_fmac_f32_e32 v20, v27, v7
	v_fmac_f32_e32 v16, v31, v16
	v_div_fmas_f32 v6, v15, v6, v10
	v_rcp_f32_e32 v36, v30
	v_mul_f32_e32 v26, v12, v26
	v_mul_f32_e32 v9, v9, v20
	;; [unrolled: 1-line block ×3, first 2 shown]
	v_fma_f32 v31, -v32, v35, 1.0
	v_mul_f32_e32 v22, 4.0, v22
	s_waitcnt lgkmcnt(0)
	v_fma_f32 v19, v19, v23, -v26
	v_div_scale_f32 v20, null, v25, v25, v9
	v_fma_f32 v27, -v29, v7, v24
	v_fma_f32 v15, -v30, v36, 1.0
	v_fmac_f32_e32 v35, v31, v35
	v_div_scale_f32 v10, s1, v14, v33, v14
	v_fmac_f32_e32 v7, v27, v16
	v_fmac_f32_e32 v36, v15, v36
	v_rcp_f32_e32 v15, v20
	v_mul_f32_e32 v19, v22, v19
	v_mul_f32_e32 v31, v10, v35
	v_div_scale_f32 v26, s2, v21, v28, v21
	v_fma_f32 v24, -v29, v7, v24
	v_div_scale_f32 v37, null, v33, v33, v19
	s_mov_b32 vcc_lo, s0
	v_add_f32_e32 v12, v12, v23
	v_fma_f32 v27, -v20, v15, 1.0
	v_fma_f32 v22, -v32, v31, v10
	v_mul_f32_e32 v23, v26, v36
	v_div_fmas_f32 v7, v24, v16, v7
	ds_bpermute_b32 v16, v17, v5
	v_fmac_f32_e32 v15, v27, v15
	v_rcp_f32_e32 v27, v37
	ds_bpermute_b32 v18, v8, v4
	ds_bpermute_b32 v8, v8, v2
	v_fmac_f32_e32 v31, v22, v35
	v_fma_f32 v22, -v30, v23, v26
	v_div_scale_f32 v29, s3, v9, v25, v9
	ds_bpermute_b32 v24, v17, v33
	v_fma_f32 v10, -v32, v31, v10
	v_fmac_f32_e32 v23, v22, v36
	v_mul_f32_e32 v22, v29, v15
	v_fma_f32 v32, -v37, v27, 1.0
	s_mov_b32 vcc_lo, s1
	v_div_fixup_f32 v7, v7, v25, v11
	v_div_fmas_f32 v10, v10, v35, v31
	v_fma_f32 v26, -v30, v23, v26
	v_fma_f32 v30, -v20, v22, v29
	v_fmac_f32_e32 v27, v32, v27
	v_div_scale_f32 v31, s0, v19, v33, v19
	s_mov_b32 vcc_lo, s2
	v_fmac_f32_e32 v22, v30, v15
	v_div_fmas_f32 v23, v26, v36, v23
	v_mul_f32_e32 v26, v31, v27
	s_waitcnt lgkmcnt(3)
	v_sub_f32_e32 v16, v16, v5
	s_waitcnt lgkmcnt(1)
	v_add_f32_e32 v2, v2, v8
	v_fma_f32 v20, -v20, v22, v29
	v_div_fixup_f32 v21, v23, v28, v21
	v_fma_f32 v23, -v37, v26, v31
	s_waitcnt lgkmcnt(0)
	v_add_f32_e32 v8, v33, v24
	v_mul_f32_e32 v28, v16, v24
	s_mov_b32 vcc_lo, s3
	v_add_f32_e32 v2, v2, v21
	v_div_fmas_f32 v15, v20, v15, v22
	v_fmac_f32_e32 v26, v23, v27
	v_div_scale_f32 v20, null, v8, v8, v28
	s_mov_b32 vcc_lo, s0
	v_div_fixup_f32 v9, v15, v25, v9
	v_fma_f32 v11, -v37, v26, v31
	v_rcp_f32_e32 v15, v20
	v_div_fixup_f32 v6, v6, v33, v13
	v_add_f32_e32 v7, v12, v7
	v_add_f32_e32 v2, v9, v2
	v_div_fmas_f32 v11, v11, v27, v26
	v_cmp_lt_f32_e32 vcc_lo, v4, v18
	v_div_fixup_f32 v10, v10, v33, v14
	v_add_f32_e32 v6, v34, v6
	v_sub_f32_e32 v30, v33, v24
	v_div_fixup_f32 v9, v11, v33, v19
	v_fma_f32 v11, -v20, v15, 1.0
	v_cndmask_b32_e32 v4, v4, v18, vcc_lo
	v_add_f32_e32 v7, v10, v7
	v_mul_f32_e32 v10, v16, v16
	v_add_f32_e32 v2, v9, v2
	v_fmac_f32_e32 v15, v11, v15
	v_div_scale_f32 v9, vcc_lo, v28, v8, v28
	ds_bpermute_b32 v11, v17, v3
	ds_bpermute_b32 v14, v17, v6
	v_mul_f32_e32 v12, v33, v10
	v_mul_f32_e32 v18, v9, v15
	v_mul_f32_e32 v21, v16, v10
	v_mul_f32_e32 v22, v8, v8
	ds_bpermute_b32 v19, v17, v7
	v_mul_f32_e32 v12, v12, v24
	v_fma_f32 v23, -v20, v18, v9
	v_mul_f32_e32 v27, v33, v21
	v_mul_f32_e32 v21, v16, v21
	;; [unrolled: 1-line block ×3, first 2 shown]
	v_div_scale_f32 v26, null, v8, v8, v12
	v_fmac_f32_e32 v18, v23, v15
	v_mul_f32_e32 v27, v27, v24
	v_mul_f32_e32 v21, v33, v21
	v_rcp_f32_e32 v23, v26
	v_mul_f32_e32 v10, 0x40c00000, v10
	v_fma_f32 v20, -v20, v18, v9
	s_waitcnt lgkmcnt(2)
	v_cmp_gt_f32_e64 s0, v3, v11
	v_mul_f32_e32 v21, v21, v24
	ds_bpermute_b32 v13, v17, v4
	ds_bpermute_b32 v17, v17, v2
	v_cndmask_b32_e64 v9, v3, v11, s0
	v_div_fmas_f32 v11, v20, v15, v18
	v_mul_f32_e32 v15, v6, v24
	v_mul_f32_e32 v3, v30, v27
	;; [unrolled: 1-line block ×3, first 2 shown]
	v_fma_f32 v18, -v26, v23, 1.0
	v_div_fixup_f32 v11, v11, v8, v28
	s_waitcnt lgkmcnt(3)
	v_fma_f32 v15, v33, v14, -v15
	v_div_scale_f32 v20, null, v22, v22, v3
	v_fmac_f32_e32 v23, v18, v23
	v_div_scale_f32 v18, vcc_lo, v12, v8, v12
	v_mul_f32_e32 v15, v27, v15
	v_fma_f32 v27, -v33, v24, v25
	v_rcp_f32_e32 v30, v20
	v_mul_f32_e32 v25, v25, v14
	v_mul_f32_e32 v31, v18, v23
	v_div_scale_f32 v32, null, v8, v8, v15
	v_fmac_f32_e32 v27, v24, v24
	v_mul_f32_e32 v16, 4.0, v16
	v_fma_f32 v28, -v26, v31, v18
	v_rcp_f32_e32 v35, v32
	s_waitcnt lgkmcnt(0)
	v_add_f32_e32 v2, v2, v17
	v_mul_f32_e32 v21, v27, v21
	v_mul_f32_e32 v27, v24, v24
	v_fma_f32 v34, -v20, v30, 1.0
	v_fmac_f32_e32 v31, v28, v23
	v_mul_f32_e32 v24, v7, v24
	v_add_f32_e32 v7, v7, v19
	v_fmac_f32_e32 v25, v27, v6
	v_fmac_f32_e32 v30, v34, v30
	v_div_scale_f32 v34, null, v29, v29, v21
	v_fma_f32 v24, v33, v19, -v24
	v_mul_f32_e32 v10, v10, v25
	v_div_scale_f32 v27, s0, v3, v22, v3
	v_rcp_f32_e32 v37, v34
	v_mul_f32_e32 v16, v16, v24
	v_div_scale_f32 v28, null, v22, v22, v10
	v_fma_f32 v36, -v32, v35, 1.0
	v_mul_f32_e32 v25, v27, v30
	v_div_scale_f32 v40, null, v8, v8, v16
	v_rcp_f32_e32 v39, v28
	v_fmac_f32_e32 v35, v36, v35
	v_fma_f32 v38, -v34, v37, 1.0
	v_div_scale_f32 v36, s1, v15, v8, v15
	v_fma_f32 v18, -v26, v31, v18
	v_fma_f32 v26, -v20, v25, v27
	v_fmac_f32_e32 v37, v38, v37
	v_div_scale_f32 v24, s2, v21, v29, v21
	v_fma_f32 v38, -v28, v39, 1.0
	v_mul_f32_e32 v33, v36, v35
	v_fmac_f32_e32 v25, v26, v30
	v_mul_f32_e32 v41, v24, v37
	v_div_scale_f32 v42, s3, v10, v22, v10
	v_fmac_f32_e32 v39, v38, v39
	v_rcp_f32_e32 v38, v40
	v_fma_f32 v26, -v32, v33, v36
	v_div_fmas_f32 v18, v18, v23, v31
	v_fma_f32 v20, -v20, v25, v27
	v_fma_f32 v23, -v34, v41, v24
	s_mov_b32 vcc_lo, s0
	v_fmac_f32_e32 v33, v26, v35
	v_mul_f32_e32 v26, v42, v39
	v_div_fmas_f32 v20, v20, v30, v25
	v_fmac_f32_e32 v41, v23, v37
	v_fma_f32 v27, -v40, v38, 1.0
	v_fma_f32 v25, -v32, v33, v36
	v_fma_f32 v23, -v28, v26, v42
	s_mov_b32 vcc_lo, s1
	v_fma_f32 v24, -v34, v41, v24
	v_fmac_f32_e32 v38, v27, v38
	v_div_scale_f32 v27, s0, v16, v8, v16
	v_div_fmas_f32 v25, v25, v35, v33
	s_mov_b32 vcc_lo, s2
	v_fmac_f32_e32 v26, v23, v39
	v_mul_f32_e32 v30, v27, v38
	v_div_fmas_f32 v23, v24, v37, v41
	v_add_f32_e32 v6, v6, v14
	s_mov_b32 vcc_lo, s3
	v_fma_f32 v14, -v28, v26, v42
	v_fma_f32 v24, -v40, v30, v27
	v_div_fixup_f32 v17, v23, v29, v21
	v_div_fixup_f32 v3, v20, v22, v3
	;; [unrolled: 1-line block ×3, first 2 shown]
	v_div_fmas_f32 v14, v14, v39, v26
	v_fmac_f32_e32 v30, v24, v38
	s_mov_b32 vcc_lo, s0
	v_add_f32_e32 v2, v2, v17
	v_add_f32_e32 v3, v7, v3
	v_div_fixup_f32 v10, v14, v22, v10
	v_fma_f32 v19, -v40, v30, v27
	v_div_fixup_f32 v7, v25, v8, v15
	v_add_f32_e32 v11, v5, v11
	v_add_f32_e32 v12, v6, v12
	;; [unrolled: 1-line block ×3, first 2 shown]
	v_div_fmas_f32 v14, v19, v38, v30
	v_cmp_lt_f32_e32 vcc_lo, v4, v13
	v_div_fixup_f32 v14, v14, v8, v16
	v_cndmask_b32_e32 v10, v4, v13, vcc_lo
	v_add_f32_e32 v13, v7, v3
	v_add_f32_e32 v14, v14, v2
.LBB35_97:
	s_or_b32 exec_lo, exec_lo, s4
	s_branch .LBB35_125
.LBB35_98:
                                        ; implicit-def: $vgpr7
                                        ; implicit-def: $vgpr4
                                        ; implicit-def: $sgpr6_sgpr7
.LBB35_99:
	s_and_saveexec_b32 s0, s19
	s_cbranch_execnz .LBB35_130
.LBB35_100:
	s_endpgm
.LBB35_101:
                                        ; implicit-def: $vgpr8
                                        ; implicit-def: $vgpr10
                                        ; implicit-def: $vgpr12
                                        ; implicit-def: $vgpr14
	s_cbranch_execz .LBB35_125
; %bb.102:
	s_sub_i32 s0, s8, s22
	s_mov_b32 s1, exec_lo
                                        ; implicit-def: $vgpr11
	v_cmpx_gt_u32_e64 s0, v0
	s_cbranch_execz .LBB35_104
; %bb.103:
	s_lshl_b64 s[2:3], s[22:23], 2
	v_lshlrev_b32_e32 v2, 2, v0
	s_add_u32 s2, s20, s2
	s_addc_u32 s3, s21, s3
	global_load_dword v11, v2, s[2:3]
.LBB35_104:
	s_or_b32 exec_lo, exec_lo, s1
	v_cmp_ne_u32_e32 vcc_lo, 31, v1
	s_waitcnt lgkmcnt(1)
	v_and_b32_e32 v3, 0xe0, v0
	s_min_u32 s4, s0, 0x100
	v_mov_b32_e32 v14, 0
	v_mov_b32_e32 v8, 1.0
	v_add_co_ci_u32_e64 v2, null, 0, v1, vcc_lo
	v_mov_b32_e32 v13, 0
	v_mov_b32_e32 v12, 0
	s_waitcnt vmcnt(0)
	v_mov_b32_e32 v10, v11
	s_waitcnt lgkmcnt(0)
	v_lshlrev_b32_e32 v4, 2, v2
	v_sub_nc_u32_e64 v2, s4, v3 clamp
	v_add_nc_u32_e32 v3, 1, v1
	v_mov_b32_e32 v9, v11
	v_mov_b32_e32 v7, 0
	ds_bpermute_b32 v4, v4, v11
	v_mov_b32_e32 v6, 0
	v_cmp_lt_u32_e32 vcc_lo, v3, v2
	v_mov_b32_e32 v3, 1.0
	v_mov_b32_e32 v17, v11
	v_mov_b32_e32 v19, v11
	s_and_saveexec_b32 s0, vcc_lo
	s_cbranch_execz .LBB35_106
; %bb.105:
	s_waitcnt lgkmcnt(0)
	v_sub_f32_e32 v5, v4, v11
	v_cmp_gt_f32_e32 vcc_lo, v11, v4
	v_mov_b32_e32 v7, 0
	v_mov_b32_e32 v3, 2.0
	v_mul_f32_e32 v6, v5, v5
	v_cndmask_b32_e32 v9, v11, v4, vcc_lo
	v_cmp_lt_f32_e32 vcc_lo, v11, v4
	v_mul_f32_e32 v8, 0x40400000, v5
	v_mul_f32_e32 v15, 4.0, v5
	v_mul_f32_e32 v12, 0x40c00000, v6
	v_mov_b32_e32 v19, v9
	v_cndmask_b32_e32 v10, v11, v4, vcc_lo
	v_mul_f32_e32 v4, v5, v6
	v_mul_f32_e32 v16, 0, v8
	;; [unrolled: 1-line block ×3, first 2 shown]
	v_fma_f32 v12, v6, 0.5, 0
	v_mov_b32_e32 v8, 2.0
	v_mul_f32_e32 v13, v5, v4
	v_mul_f32_e32 v4, 0, v4
	v_fmac_f32_e32 v11, 0.5, v5
	v_mov_b32_e32 v6, v12
	v_fmamk_f32 v14, v13, 0x3e000000, v7
	v_fma_f32 v13, 0x3e800000, v4, 0
	v_mul_f32_e32 v4, 0, v15
	v_fmac_f32_e32 v14, 0x3e800000, v17
	v_fmac_f32_e32 v13, 0.5, v16
	v_mov_b32_e32 v17, v10
	v_fmac_f32_e32 v14, 0.5, v4
	v_mov_b32_e32 v7, v13
.LBB35_106:
	s_or_b32 exec_lo, exec_lo, s0
	v_cmp_gt_u32_e32 vcc_lo, 30, v1
	v_add_nc_u32_e32 v22, 2, v1
	s_mov_b32 s5, exec_lo
	s_waitcnt lgkmcnt(0)
	v_cndmask_b32_e64 v4, 0, 2, vcc_lo
	v_add_lshl_u32 v5, v4, v1, 2
	ds_bpermute_b32 v16, v5, v3
	ds_bpermute_b32 v20, v5, v19
	;; [unrolled: 1-line block ×7, first 2 shown]
	v_cmpx_lt_u32_e64 v22, v2
	s_cbranch_execz .LBB35_108
; %bb.107:
	s_waitcnt lgkmcnt(3)
	v_sub_f32_e32 v6, v21, v11
	v_add_f32_e32 v3, v8, v16
	v_cmp_gt_f32_e32 vcc_lo, v9, v20
	v_mul_f32_e32 v21, v12, v16
	v_mul_f32_e32 v24, v8, v8
	;; [unrolled: 1-line block ×4, first 2 shown]
	v_cndmask_b32_e32 v9, v9, v20, vcc_lo
	v_sub_f32_e32 v20, v8, v16
	v_mul_f32_e32 v28, 0x40400000, v6
	v_div_scale_f32 v22, null, v3, v3, v17
	v_mul_f32_e32 v23, v8, v19
	v_mul_f32_e32 v26, v6, v19
	v_div_scale_f32 v35, vcc_lo, v17, v3, v17
	v_rcp_f32_e32 v27, v22
	v_mul_f32_e32 v23, v23, v16
	v_mul_f32_e32 v29, v8, v26
	;; [unrolled: 1-line block ×3, first 2 shown]
	s_waitcnt lgkmcnt(2)
	v_fma_f32 v21, v8, v18, -v21
	v_fma_f32 v31, -v8, v16, v24
	v_div_scale_f32 v30, null, v3, v3, v23
	v_mul_f32_e32 v29, v29, v16
	v_mul_f32_e32 v26, v8, v26
	v_fma_f32 v33, -v22, v27, 1.0
	v_rcp_f32_e32 v34, v30
	v_mul_f32_e32 v25, v3, v3
	v_mul_f32_e32 v20, v20, v29
	;; [unrolled: 1-line block ×3, first 2 shown]
	v_fmac_f32_e32 v27, v33, v27
	v_fmac_f32_e32 v31, v16, v16
	v_mul_f32_e32 v26, v26, v16
	v_mul_f32_e32 v32, v3, v25
	v_div_scale_f32 v28, null, v25, v25, v20
	v_mul_f32_e32 v29, v35, v27
	v_fma_f32 v33, -v30, v34, 1.0
	v_mul_f32_e32 v26, v31, v26
	v_add_f32_e32 v7, v12, v18
	v_div_scale_f32 v36, s0, v23, v3, v23
	v_fma_f32 v38, -v22, v29, v35
	v_fmac_f32_e32 v34, v33, v34
	v_div_scale_f32 v33, null, v3, v3, v21
	v_rcp_f32_e32 v37, v28
	v_fmac_f32_e32 v29, v38, v27
	v_mul_f32_e32 v18, v24, v18
	v_rcp_f32_e32 v39, v33
	v_div_scale_f32 v24, null, v32, v32, v26
	v_fma_f32 v22, -v22, v29, v35
	v_mul_f32_e32 v38, v36, v34
	v_mul_f32_e32 v19, 0x40c00000, v19
	v_mul_f32_e32 v6, 4.0, v6
	v_fma_f32 v40, -v28, v37, 1.0
	v_div_fmas_f32 v22, v22, v27, v29
	v_mul_f32_e32 v27, v16, v16
	v_rcp_f32_e32 v29, v24
	v_mul_f32_e32 v16, v13, v16
	v_fma_f32 v35, -v30, v38, v36
	v_fmac_f32_e32 v37, v40, v37
	v_fmac_f32_e32 v18, v12, v27
	v_fma_f32 v27, -v33, v39, 1.0
	s_waitcnt lgkmcnt(1)
	v_fma_f32 v8, v8, v15, -v16
	v_fmac_f32_e32 v38, v35, v34
	v_div_scale_f32 v12, s1, v20, v25, v20
	v_mul_f32_e32 v18, v19, v18
	v_fmac_f32_e32 v39, v27, v39
	v_fma_f32 v35, -v24, v29, 1.0
	v_mul_f32_e32 v8, v6, v8
	v_fma_f32 v19, -v30, v38, v36
	v_div_scale_f32 v27, null, v25, v25, v18
	v_mul_f32_e32 v30, v12, v37
	v_div_scale_f32 v31, s2, v21, v3, v21
	v_rcp_f32_e32 v16, v27
	v_fmac_f32_e32 v29, v35, v29
	v_div_scale_f32 v35, null, v3, v3, v8
	s_mov_b32 vcc_lo, s0
	v_fma_f32 v6, -v28, v30, v12
	v_div_fmas_f32 v19, v19, v34, v38
	v_mul_f32_e32 v34, v31, v39
	v_div_scale_f32 v36, s0, v26, v32, v26
	v_rcp_f32_e32 v40, v35
	v_fma_f32 v38, -v27, v16, 1.0
	v_fmac_f32_e32 v30, v6, v37
	v_fma_f32 v6, -v33, v34, v31
	v_mul_f32_e32 v41, v36, v29
	v_add_f32_e32 v13, v13, v15
	v_fmac_f32_e32 v16, v38, v16
	v_div_scale_f32 v38, s3, v18, v25, v18
	v_fma_f32 v12, -v28, v30, v12
	v_fmac_f32_e32 v34, v6, v39
	v_fma_f32 v6, -v24, v41, v36
	v_fma_f32 v28, -v35, v40, 1.0
	v_mul_f32_e32 v15, v38, v16
	s_mov_b32 vcc_lo, s1
	s_waitcnt lgkmcnt(0)
	v_add_f32_e32 v5, v14, v5
	v_fmac_f32_e32 v41, v6, v29
	v_fmac_f32_e32 v40, v28, v40
	v_div_scale_f32 v28, s1, v8, v3, v8
	v_div_fmas_f32 v12, v12, v37, v30
	v_fma_f32 v30, -v33, v34, v31
	v_fma_f32 v6, -v27, v15, v38
	;; [unrolled: 1-line block ×3, first 2 shown]
	v_mul_f32_e32 v31, v28, v40
	s_mov_b32 vcc_lo, s2
	v_div_fixup_f32 v12, v12, v25, v20
	v_div_fmas_f32 v30, v30, v39, v34
	s_mov_b32 vcc_lo, s0
	v_fmac_f32_e32 v15, v6, v16
	v_div_fmas_f32 v6, v24, v29, v41
	v_fma_f32 v24, -v35, v31, v28
	s_mov_b32 vcc_lo, s3
	v_add_f32_e32 v12, v13, v12
	v_fma_f32 v14, -v27, v15, v38
	v_div_fixup_f32 v6, v6, v32, v26
	v_fmac_f32_e32 v31, v24, v40
	v_div_fixup_f32 v17, v22, v3, v17
	v_div_fmas_f32 v14, v14, v16, v15
	s_mov_b32 vcc_lo, s1
	v_fma_f32 v13, -v35, v31, v28
	v_div_fixup_f32 v15, v19, v3, v23
	v_add_f32_e32 v5, v5, v6
	v_div_fixup_f32 v14, v14, v25, v18
	v_div_fixup_f32 v16, v30, v3, v21
	v_div_fmas_f32 v13, v13, v40, v31
	v_cmp_lt_f32_e32 vcc_lo, v10, v4
	v_add_f32_e32 v6, v7, v15
	v_add_f32_e32 v5, v14, v5
	;; [unrolled: 1-line block ×3, first 2 shown]
	v_div_fixup_f32 v8, v13, v3, v8
	v_cndmask_b32_e32 v10, v10, v4, vcc_lo
	v_add_f32_e32 v11, v11, v17
	v_mov_b32_e32 v12, v6
	v_mov_b32_e32 v13, v7
	v_add_f32_e32 v14, v8, v5
	v_mov_b32_e32 v8, v3
	v_mov_b32_e32 v17, v10
	v_mov_b32_e32 v19, v9
.LBB35_108:
	s_or_b32 exec_lo, exec_lo, s5
	v_cmp_gt_u32_e32 vcc_lo, 28, v1
	v_add_nc_u32_e32 v22, 4, v1
	s_mov_b32 s5, exec_lo
	s_waitcnt lgkmcnt(4)
	v_cndmask_b32_e64 v4, 0, 4, vcc_lo
	s_waitcnt lgkmcnt(0)
	v_add_lshl_u32 v5, v4, v1, 2
	ds_bpermute_b32 v16, v5, v3
	ds_bpermute_b32 v20, v5, v19
	;; [unrolled: 1-line block ×7, first 2 shown]
	v_cmpx_lt_u32_e64 v22, v2
	s_cbranch_execz .LBB35_110
; %bb.109:
	s_waitcnt lgkmcnt(3)
	v_sub_f32_e32 v6, v21, v11
	v_add_f32_e32 v3, v8, v16
	v_cmp_gt_f32_e32 vcc_lo, v9, v20
	v_mul_f32_e32 v21, v12, v16
	v_mul_f32_e32 v24, v8, v8
	;; [unrolled: 1-line block ×4, first 2 shown]
	v_cndmask_b32_e32 v9, v9, v20, vcc_lo
	v_sub_f32_e32 v20, v8, v16
	v_mul_f32_e32 v28, 0x40400000, v6
	v_div_scale_f32 v22, null, v3, v3, v17
	v_mul_f32_e32 v23, v8, v19
	v_mul_f32_e32 v26, v6, v19
	v_div_scale_f32 v35, vcc_lo, v17, v3, v17
	v_rcp_f32_e32 v27, v22
	v_mul_f32_e32 v23, v23, v16
	v_mul_f32_e32 v29, v8, v26
	;; [unrolled: 1-line block ×3, first 2 shown]
	s_waitcnt lgkmcnt(2)
	v_fma_f32 v21, v8, v18, -v21
	v_fma_f32 v31, -v8, v16, v24
	v_div_scale_f32 v30, null, v3, v3, v23
	v_mul_f32_e32 v29, v29, v16
	v_mul_f32_e32 v26, v8, v26
	v_fma_f32 v33, -v22, v27, 1.0
	v_rcp_f32_e32 v34, v30
	v_mul_f32_e32 v25, v3, v3
	v_mul_f32_e32 v20, v20, v29
	;; [unrolled: 1-line block ×3, first 2 shown]
	v_fmac_f32_e32 v27, v33, v27
	v_fmac_f32_e32 v31, v16, v16
	v_mul_f32_e32 v26, v26, v16
	v_mul_f32_e32 v32, v3, v25
	v_div_scale_f32 v28, null, v25, v25, v20
	v_mul_f32_e32 v29, v35, v27
	v_fma_f32 v33, -v30, v34, 1.0
	v_mul_f32_e32 v26, v31, v26
	v_add_f32_e32 v7, v12, v18
	v_div_scale_f32 v36, s0, v23, v3, v23
	v_fma_f32 v38, -v22, v29, v35
	v_fmac_f32_e32 v34, v33, v34
	v_div_scale_f32 v33, null, v3, v3, v21
	v_rcp_f32_e32 v37, v28
	v_fmac_f32_e32 v29, v38, v27
	v_mul_f32_e32 v18, v24, v18
	v_rcp_f32_e32 v39, v33
	v_div_scale_f32 v24, null, v32, v32, v26
	v_fma_f32 v22, -v22, v29, v35
	v_mul_f32_e32 v38, v36, v34
	v_mul_f32_e32 v19, 0x40c00000, v19
	v_mul_f32_e32 v6, 4.0, v6
	v_fma_f32 v40, -v28, v37, 1.0
	v_div_fmas_f32 v22, v22, v27, v29
	v_mul_f32_e32 v27, v16, v16
	v_rcp_f32_e32 v29, v24
	v_mul_f32_e32 v16, v13, v16
	v_fma_f32 v35, -v30, v38, v36
	v_fmac_f32_e32 v37, v40, v37
	v_fmac_f32_e32 v18, v12, v27
	v_fma_f32 v27, -v33, v39, 1.0
	s_waitcnt lgkmcnt(1)
	v_fma_f32 v8, v8, v15, -v16
	v_fmac_f32_e32 v38, v35, v34
	v_div_scale_f32 v12, s1, v20, v25, v20
	v_mul_f32_e32 v18, v19, v18
	v_fmac_f32_e32 v39, v27, v39
	v_fma_f32 v35, -v24, v29, 1.0
	v_mul_f32_e32 v8, v6, v8
	v_fma_f32 v19, -v30, v38, v36
	v_div_scale_f32 v27, null, v25, v25, v18
	v_mul_f32_e32 v30, v12, v37
	v_div_scale_f32 v31, s2, v21, v3, v21
	v_rcp_f32_e32 v16, v27
	v_fmac_f32_e32 v29, v35, v29
	v_div_scale_f32 v35, null, v3, v3, v8
	s_mov_b32 vcc_lo, s0
	v_fma_f32 v6, -v28, v30, v12
	v_div_fmas_f32 v19, v19, v34, v38
	v_mul_f32_e32 v34, v31, v39
	v_div_scale_f32 v36, s0, v26, v32, v26
	v_rcp_f32_e32 v40, v35
	v_fma_f32 v38, -v27, v16, 1.0
	v_fmac_f32_e32 v30, v6, v37
	v_fma_f32 v6, -v33, v34, v31
	v_mul_f32_e32 v41, v36, v29
	v_add_f32_e32 v13, v13, v15
	v_fmac_f32_e32 v16, v38, v16
	v_div_scale_f32 v38, s3, v18, v25, v18
	v_fma_f32 v12, -v28, v30, v12
	v_fmac_f32_e32 v34, v6, v39
	v_fma_f32 v6, -v24, v41, v36
	v_fma_f32 v28, -v35, v40, 1.0
	v_mul_f32_e32 v15, v38, v16
	s_mov_b32 vcc_lo, s1
	s_waitcnt lgkmcnt(0)
	v_add_f32_e32 v5, v14, v5
	v_fmac_f32_e32 v41, v6, v29
	v_fmac_f32_e32 v40, v28, v40
	v_div_scale_f32 v28, s1, v8, v3, v8
	v_div_fmas_f32 v12, v12, v37, v30
	v_fma_f32 v30, -v33, v34, v31
	v_fma_f32 v6, -v27, v15, v38
	;; [unrolled: 1-line block ×3, first 2 shown]
	v_mul_f32_e32 v31, v28, v40
	s_mov_b32 vcc_lo, s2
	v_div_fixup_f32 v12, v12, v25, v20
	v_div_fmas_f32 v30, v30, v39, v34
	s_mov_b32 vcc_lo, s0
	v_fmac_f32_e32 v15, v6, v16
	v_div_fmas_f32 v6, v24, v29, v41
	v_fma_f32 v24, -v35, v31, v28
	s_mov_b32 vcc_lo, s3
	v_add_f32_e32 v12, v13, v12
	v_fma_f32 v14, -v27, v15, v38
	v_div_fixup_f32 v6, v6, v32, v26
	v_fmac_f32_e32 v31, v24, v40
	v_div_fixup_f32 v17, v22, v3, v17
	v_div_fmas_f32 v14, v14, v16, v15
	s_mov_b32 vcc_lo, s1
	v_fma_f32 v13, -v35, v31, v28
	v_div_fixup_f32 v15, v19, v3, v23
	v_add_f32_e32 v5, v5, v6
	v_div_fixup_f32 v14, v14, v25, v18
	v_div_fixup_f32 v16, v30, v3, v21
	v_div_fmas_f32 v13, v13, v40, v31
	v_cmp_lt_f32_e32 vcc_lo, v10, v4
	v_add_f32_e32 v6, v7, v15
	v_add_f32_e32 v5, v14, v5
	;; [unrolled: 1-line block ×3, first 2 shown]
	v_div_fixup_f32 v8, v13, v3, v8
	v_cndmask_b32_e32 v10, v10, v4, vcc_lo
	v_add_f32_e32 v11, v11, v17
	v_mov_b32_e32 v12, v6
	v_mov_b32_e32 v13, v7
	v_add_f32_e32 v14, v8, v5
	v_mov_b32_e32 v8, v3
	v_mov_b32_e32 v17, v10
	v_mov_b32_e32 v19, v9
.LBB35_110:
	s_or_b32 exec_lo, exec_lo, s5
	v_cmp_gt_u32_e32 vcc_lo, 24, v1
	v_add_nc_u32_e32 v22, 8, v1
	s_mov_b32 s5, exec_lo
	s_waitcnt lgkmcnt(4)
	v_cndmask_b32_e64 v4, 0, 8, vcc_lo
	s_waitcnt lgkmcnt(0)
	v_add_lshl_u32 v5, v4, v1, 2
	ds_bpermute_b32 v16, v5, v3
	ds_bpermute_b32 v20, v5, v19
	;; [unrolled: 1-line block ×7, first 2 shown]
	v_cmpx_lt_u32_e64 v22, v2
	s_cbranch_execz .LBB35_112
; %bb.111:
	s_waitcnt lgkmcnt(3)
	v_sub_f32_e32 v6, v21, v11
	v_add_f32_e32 v3, v8, v16
	v_cmp_gt_f32_e32 vcc_lo, v9, v20
	v_mul_f32_e32 v21, v12, v16
	v_mul_f32_e32 v24, v8, v8
	;; [unrolled: 1-line block ×4, first 2 shown]
	v_cndmask_b32_e32 v9, v9, v20, vcc_lo
	v_sub_f32_e32 v20, v8, v16
	v_mul_f32_e32 v28, 0x40400000, v6
	v_div_scale_f32 v22, null, v3, v3, v17
	v_mul_f32_e32 v23, v8, v19
	v_mul_f32_e32 v26, v6, v19
	v_div_scale_f32 v35, vcc_lo, v17, v3, v17
	v_rcp_f32_e32 v27, v22
	v_mul_f32_e32 v23, v23, v16
	v_mul_f32_e32 v29, v8, v26
	;; [unrolled: 1-line block ×3, first 2 shown]
	s_waitcnt lgkmcnt(2)
	v_fma_f32 v21, v8, v18, -v21
	v_fma_f32 v31, -v8, v16, v24
	v_div_scale_f32 v30, null, v3, v3, v23
	v_mul_f32_e32 v29, v29, v16
	v_mul_f32_e32 v26, v8, v26
	v_fma_f32 v33, -v22, v27, 1.0
	v_rcp_f32_e32 v34, v30
	v_mul_f32_e32 v25, v3, v3
	v_mul_f32_e32 v20, v20, v29
	;; [unrolled: 1-line block ×3, first 2 shown]
	v_fmac_f32_e32 v27, v33, v27
	v_fmac_f32_e32 v31, v16, v16
	v_mul_f32_e32 v26, v26, v16
	v_mul_f32_e32 v32, v3, v25
	v_div_scale_f32 v28, null, v25, v25, v20
	v_mul_f32_e32 v29, v35, v27
	v_fma_f32 v33, -v30, v34, 1.0
	v_mul_f32_e32 v26, v31, v26
	v_add_f32_e32 v7, v12, v18
	v_div_scale_f32 v36, s0, v23, v3, v23
	v_fma_f32 v38, -v22, v29, v35
	v_fmac_f32_e32 v34, v33, v34
	v_div_scale_f32 v33, null, v3, v3, v21
	v_rcp_f32_e32 v37, v28
	v_fmac_f32_e32 v29, v38, v27
	v_mul_f32_e32 v18, v24, v18
	v_rcp_f32_e32 v39, v33
	v_div_scale_f32 v24, null, v32, v32, v26
	v_fma_f32 v22, -v22, v29, v35
	v_mul_f32_e32 v38, v36, v34
	v_mul_f32_e32 v19, 0x40c00000, v19
	v_mul_f32_e32 v6, 4.0, v6
	v_fma_f32 v40, -v28, v37, 1.0
	v_div_fmas_f32 v22, v22, v27, v29
	v_mul_f32_e32 v27, v16, v16
	v_rcp_f32_e32 v29, v24
	v_mul_f32_e32 v16, v13, v16
	v_fma_f32 v35, -v30, v38, v36
	v_fmac_f32_e32 v37, v40, v37
	v_fmac_f32_e32 v18, v12, v27
	v_fma_f32 v27, -v33, v39, 1.0
	s_waitcnt lgkmcnt(1)
	v_fma_f32 v8, v8, v15, -v16
	v_fmac_f32_e32 v38, v35, v34
	v_div_scale_f32 v12, s1, v20, v25, v20
	v_mul_f32_e32 v18, v19, v18
	v_fmac_f32_e32 v39, v27, v39
	v_fma_f32 v35, -v24, v29, 1.0
	v_mul_f32_e32 v8, v6, v8
	v_fma_f32 v19, -v30, v38, v36
	v_div_scale_f32 v27, null, v25, v25, v18
	v_mul_f32_e32 v30, v12, v37
	v_div_scale_f32 v31, s2, v21, v3, v21
	v_rcp_f32_e32 v16, v27
	v_fmac_f32_e32 v29, v35, v29
	v_div_scale_f32 v35, null, v3, v3, v8
	s_mov_b32 vcc_lo, s0
	v_fma_f32 v6, -v28, v30, v12
	v_div_fmas_f32 v19, v19, v34, v38
	v_mul_f32_e32 v34, v31, v39
	v_div_scale_f32 v36, s0, v26, v32, v26
	v_rcp_f32_e32 v40, v35
	v_fma_f32 v38, -v27, v16, 1.0
	v_fmac_f32_e32 v30, v6, v37
	v_fma_f32 v6, -v33, v34, v31
	v_mul_f32_e32 v41, v36, v29
	v_add_f32_e32 v13, v13, v15
	v_fmac_f32_e32 v16, v38, v16
	v_div_scale_f32 v38, s3, v18, v25, v18
	v_fma_f32 v12, -v28, v30, v12
	v_fmac_f32_e32 v34, v6, v39
	v_fma_f32 v6, -v24, v41, v36
	v_fma_f32 v28, -v35, v40, 1.0
	v_mul_f32_e32 v15, v38, v16
	s_mov_b32 vcc_lo, s1
	s_waitcnt lgkmcnt(0)
	v_add_f32_e32 v5, v14, v5
	v_fmac_f32_e32 v41, v6, v29
	v_fmac_f32_e32 v40, v28, v40
	v_div_scale_f32 v28, s1, v8, v3, v8
	v_div_fmas_f32 v12, v12, v37, v30
	v_fma_f32 v30, -v33, v34, v31
	v_fma_f32 v6, -v27, v15, v38
	;; [unrolled: 1-line block ×3, first 2 shown]
	v_mul_f32_e32 v31, v28, v40
	s_mov_b32 vcc_lo, s2
	v_div_fixup_f32 v12, v12, v25, v20
	v_div_fmas_f32 v30, v30, v39, v34
	s_mov_b32 vcc_lo, s0
	v_fmac_f32_e32 v15, v6, v16
	v_div_fmas_f32 v6, v24, v29, v41
	v_fma_f32 v24, -v35, v31, v28
	s_mov_b32 vcc_lo, s3
	v_add_f32_e32 v12, v13, v12
	v_fma_f32 v14, -v27, v15, v38
	v_div_fixup_f32 v6, v6, v32, v26
	v_fmac_f32_e32 v31, v24, v40
	v_div_fixup_f32 v17, v22, v3, v17
	v_div_fmas_f32 v14, v14, v16, v15
	s_mov_b32 vcc_lo, s1
	v_fma_f32 v13, -v35, v31, v28
	v_div_fixup_f32 v15, v19, v3, v23
	v_add_f32_e32 v5, v5, v6
	v_div_fixup_f32 v14, v14, v25, v18
	v_div_fixup_f32 v16, v30, v3, v21
	v_div_fmas_f32 v13, v13, v40, v31
	v_cmp_lt_f32_e32 vcc_lo, v10, v4
	v_add_f32_e32 v6, v7, v15
	v_add_f32_e32 v5, v14, v5
	;; [unrolled: 1-line block ×3, first 2 shown]
	v_div_fixup_f32 v8, v13, v3, v8
	v_cndmask_b32_e32 v10, v10, v4, vcc_lo
	v_add_f32_e32 v11, v11, v17
	v_mov_b32_e32 v12, v6
	v_mov_b32_e32 v13, v7
	v_add_f32_e32 v14, v8, v5
	v_mov_b32_e32 v8, v3
	v_mov_b32_e32 v17, v10
	;; [unrolled: 1-line block ×3, first 2 shown]
.LBB35_112:
	s_or_b32 exec_lo, exec_lo, s5
	s_waitcnt lgkmcnt(4)
	v_lshlrev_b32_e32 v4, 2, v1
	s_mov_b32 s5, exec_lo
	s_waitcnt lgkmcnt(0)
	v_or_b32_e32 v5, 64, v4
	ds_bpermute_b32 v15, v5, v3
	ds_bpermute_b32 v18, v5, v19
	ds_bpermute_b32 v3, v5, v17
	ds_bpermute_b32 v17, v5, v11
	ds_bpermute_b32 v16, v5, v6
	ds_bpermute_b32 v6, v5, v7
	ds_bpermute_b32 v5, v5, v14
	v_add_nc_u32_e32 v7, 16, v1
	v_cmpx_lt_u32_e64 v7, v2
	s_cbranch_execz .LBB35_114
; %bb.113:
	s_waitcnt lgkmcnt(3)
	v_sub_f32_e32 v2, v17, v11
	v_cmp_gt_f32_e32 vcc_lo, v9, v18
	v_add_f32_e32 v7, v8, v15
	v_sub_f32_e32 v20, v8, v15
	v_mul_f32_e32 v21, v12, v15
	v_mul_f32_e32 v19, v2, v2
	v_cndmask_b32_e32 v9, v9, v18, vcc_lo
	v_mul_f32_e32 v18, v2, v15
	v_mul_f32_e32 v24, v8, v8
	;; [unrolled: 1-line block ×5, first 2 shown]
	v_div_scale_f32 v22, null, v7, v7, v18
	v_div_scale_f32 v35, vcc_lo, v18, v7, v18
	v_mul_f32_e32 v23, v23, v15
	v_rcp_f32_e32 v27, v22
	v_mul_f32_e32 v29, v8, v26
	v_mul_f32_e32 v26, v2, v26
	s_waitcnt lgkmcnt(2)
	v_fma_f32 v21, v8, v16, -v21
	v_div_scale_f32 v30, null, v7, v7, v23
	v_mul_f32_e32 v29, v29, v15
	v_fma_f32 v31, -v8, v15, v24
	v_mul_f32_e32 v26, v8, v26
	v_rcp_f32_e32 v34, v30
	v_fma_f32 v33, -v22, v27, 1.0
	v_mul_f32_e32 v20, v20, v29
	v_mul_f32_e32 v25, v7, v7
	;; [unrolled: 1-line block ×3, first 2 shown]
	v_fmac_f32_e32 v31, v15, v15
	v_fmac_f32_e32 v27, v33, v27
	v_mul_f32_e32 v26, v26, v15
	v_mul_f32_e32 v32, v7, v25
	v_div_scale_f32 v28, null, v25, v25, v20
	v_mul_f32_e32 v29, v35, v27
	v_fma_f32 v33, -v30, v34, 1.0
	v_mul_f32_e32 v26, v31, v26
	v_add_f32_e32 v17, v12, v16
	v_div_scale_f32 v36, s0, v23, v7, v23
	v_fma_f32 v38, -v22, v29, v35
	v_fmac_f32_e32 v34, v33, v34
	v_div_scale_f32 v33, null, v7, v7, v21
	v_rcp_f32_e32 v37, v28
	v_fmac_f32_e32 v29, v38, v27
	v_mul_f32_e32 v16, v24, v16
	v_rcp_f32_e32 v39, v33
	v_div_scale_f32 v24, null, v32, v32, v26
	v_fma_f32 v22, -v22, v29, v35
	v_mul_f32_e32 v38, v36, v34
	v_mul_f32_e32 v19, 0x40c00000, v19
	v_mul_f32_e32 v2, 4.0, v2
	v_fma_f32 v40, -v28, v37, 1.0
	v_div_fmas_f32 v22, v22, v27, v29
	v_mul_f32_e32 v27, v15, v15
	v_rcp_f32_e32 v29, v24
	v_mul_f32_e32 v15, v13, v15
	v_fma_f32 v35, -v30, v38, v36
	v_fmac_f32_e32 v37, v40, v37
	v_fmac_f32_e32 v16, v12, v27
	v_fma_f32 v27, -v33, v39, 1.0
	s_waitcnt lgkmcnt(1)
	v_fma_f32 v8, v8, v6, -v15
	v_fmac_f32_e32 v38, v35, v34
	v_div_scale_f32 v12, s1, v20, v25, v20
	v_mul_f32_e32 v16, v19, v16
	v_fmac_f32_e32 v39, v27, v39
	v_fma_f32 v35, -v24, v29, 1.0
	v_mul_f32_e32 v2, v2, v8
	v_fma_f32 v19, -v30, v38, v36
	v_div_scale_f32 v27, null, v25, v25, v16
	v_mul_f32_e32 v30, v12, v37
	v_div_scale_f32 v31, s2, v21, v7, v21
	v_rcp_f32_e32 v15, v27
	v_fmac_f32_e32 v29, v35, v29
	v_div_scale_f32 v35, null, v7, v7, v2
	s_mov_b32 vcc_lo, s0
	v_fma_f32 v8, -v28, v30, v12
	v_div_fmas_f32 v19, v19, v34, v38
	v_mul_f32_e32 v34, v31, v39
	v_div_scale_f32 v36, s0, v26, v32, v26
	v_rcp_f32_e32 v40, v35
	v_fma_f32 v38, -v27, v15, 1.0
	v_fmac_f32_e32 v30, v8, v37
	v_fma_f32 v8, -v33, v34, v31
	v_mul_f32_e32 v41, v36, v29
	v_add_f32_e32 v6, v13, v6
	v_fmac_f32_e32 v15, v38, v15
	v_div_scale_f32 v38, s3, v16, v25, v16
	v_fma_f32 v12, -v28, v30, v12
	v_fmac_f32_e32 v34, v8, v39
	v_fma_f32 v8, -v24, v41, v36
	v_fma_f32 v28, -v35, v40, 1.0
	v_mul_f32_e32 v13, v38, v15
	s_mov_b32 vcc_lo, s1
	s_waitcnt lgkmcnt(0)
	v_add_f32_e32 v5, v14, v5
	v_fmac_f32_e32 v41, v8, v29
	v_fmac_f32_e32 v40, v28, v40
	v_div_scale_f32 v28, s1, v2, v7, v2
	v_div_fmas_f32 v12, v12, v37, v30
	v_fma_f32 v30, -v33, v34, v31
	v_fma_f32 v8, -v27, v13, v38
	;; [unrolled: 1-line block ×3, first 2 shown]
	v_mul_f32_e32 v31, v28, v40
	s_mov_b32 vcc_lo, s2
	v_div_fixup_f32 v12, v12, v25, v20
	v_div_fmas_f32 v30, v30, v39, v34
	s_mov_b32 vcc_lo, s0
	v_fmac_f32_e32 v13, v8, v15
	v_div_fmas_f32 v8, v24, v29, v41
	v_fma_f32 v24, -v35, v31, v28
	s_mov_b32 vcc_lo, s3
	v_add_f32_e32 v6, v6, v12
	v_fma_f32 v14, -v27, v13, v38
	v_div_fixup_f32 v8, v8, v32, v26
	v_fmac_f32_e32 v31, v24, v40
	v_div_fmas_f32 v13, v14, v15, v13
	s_mov_b32 vcc_lo, s1
	v_fma_f32 v12, -v35, v31, v28
	v_div_fixup_f32 v14, v19, v7, v23
	v_add_f32_e32 v5, v5, v8
	v_div_fixup_f32 v8, v13, v25, v16
	v_div_fixup_f32 v13, v30, v7, v21
	v_div_fmas_f32 v12, v12, v40, v31
	v_div_fixup_f32 v15, v22, v7, v18
	v_add_f32_e32 v16, v17, v14
	v_add_f32_e32 v5, v8, v5
	v_cmp_lt_f32_e32 vcc_lo, v10, v3
	v_div_fixup_f32 v2, v12, v7, v2
	v_add_f32_e32 v13, v13, v6
	v_add_f32_e32 v11, v11, v15
	v_mov_b32_e32 v12, v16
	v_cndmask_b32_e32 v10, v10, v3, vcc_lo
	v_add_f32_e32 v14, v2, v5
	v_mov_b32_e32 v8, v7
.LBB35_114:
	s_or_b32 exec_lo, exec_lo, s5
	s_mov_b32 s0, exec_lo
	v_cmpx_eq_u32_e32 0, v1
	s_cbranch_execz .LBB35_116
; %bb.115:
	v_lshrrev_b32_e32 v2, 5, v0
	v_mul_u32_u24_e32 v2, 28, v2
	ds_write2_b32 v2, v8, v9 offset1:1
	ds_write2_b32 v2, v10, v11 offset0:2 offset1:3
	ds_write2_b32 v2, v12, v13 offset0:4 offset1:5
	ds_write_b32 v2, v14 offset:24
.LBB35_116:
	s_or_b32 exec_lo, exec_lo, s0
	s_mov_b32 s5, exec_lo
	s_waitcnt lgkmcnt(0)
	s_barrier
	buffer_gl0_inv
	v_cmpx_gt_u32_e32 8, v0
	s_cbranch_execz .LBB35_124
; %bb.117:
	v_mul_u32_u24_e32 v3, 28, v1
	v_and_b32_e32 v2, 7, v1
	s_add_i32 s4, s4, 31
	ds_read2_b32 v[8:9], v3 offset1:1
	ds_read2_b32 v[10:11], v3 offset0:2 offset1:3
	ds_read2_b32 v[12:13], v3 offset0:4 offset1:5
	ds_read_b32 v14, v3 offset:24
	v_cmp_ne_u32_e32 vcc_lo, 7, v2
	s_lshr_b32 s4, s4, 5
	v_add_co_ci_u32_e64 v3, null, 0, v1, vcc_lo
	v_lshlrev_b32_e32 v3, 2, v3
	s_waitcnt lgkmcnt(3)
	ds_bpermute_b32 v15, v3, v8
	ds_bpermute_b32 v19, v3, v9
	s_waitcnt lgkmcnt(4)
	ds_bpermute_b32 v5, v3, v10
	ds_bpermute_b32 v20, v3, v11
	;; [unrolled: 3-line block ×3, first 2 shown]
	s_waitcnt lgkmcnt(6)
	ds_bpermute_b32 v6, v3, v14
	v_add_nc_u32_e32 v3, 1, v2
	v_mov_b32_e32 v18, v13
	v_mov_b32_e32 v17, v12
	v_cmp_gt_u32_e32 vcc_lo, s4, v3
	v_mov_b32_e32 v3, v8
	s_and_saveexec_b32 s20, vcc_lo
	s_cbranch_execz .LBB35_119
; %bb.118:
	s_waitcnt lgkmcnt(3)
	v_sub_f32_e32 v17, v20, v11
	v_cmp_gt_f32_e32 vcc_lo, v9, v19
	v_add_f32_e32 v3, v8, v15
	v_sub_f32_e32 v21, v8, v15
	v_mul_f32_e32 v22, v12, v15
	v_mul_f32_e32 v20, v17, v17
	v_cndmask_b32_e32 v9, v9, v19, vcc_lo
	v_mul_f32_e32 v19, v17, v15
	v_mul_f32_e32 v25, v8, v8
	;; [unrolled: 1-line block ×5, first 2 shown]
	v_div_scale_f32 v23, null, v3, v3, v19
	v_div_scale_f32 v36, vcc_lo, v19, v3, v19
	v_mul_f32_e32 v24, v24, v15
	v_rcp_f32_e32 v28, v23
	v_mul_f32_e32 v30, v8, v27
	v_mul_f32_e32 v27, v17, v27
	s_waitcnt lgkmcnt(2)
	v_fma_f32 v22, v8, v16, -v22
	v_div_scale_f32 v31, null, v3, v3, v24
	v_mul_f32_e32 v30, v30, v15
	v_fma_f32 v32, -v8, v15, v25
	v_mul_f32_e32 v27, v8, v27
	v_rcp_f32_e32 v35, v31
	v_fma_f32 v34, -v23, v28, 1.0
	v_mul_f32_e32 v21, v21, v30
	v_mul_f32_e32 v26, v3, v3
	;; [unrolled: 1-line block ×3, first 2 shown]
	v_fmac_f32_e32 v32, v15, v15
	v_fmac_f32_e32 v28, v34, v28
	v_mul_f32_e32 v27, v27, v15
	v_mul_f32_e32 v33, v3, v26
	v_div_scale_f32 v29, null, v26, v26, v21
	v_mul_f32_e32 v30, v36, v28
	v_fma_f32 v34, -v31, v35, 1.0
	v_mul_f32_e32 v27, v32, v27
	v_add_f32_e32 v18, v12, v16
	v_div_scale_f32 v37, s0, v24, v3, v24
	v_fma_f32 v39, -v23, v30, v36
	v_fmac_f32_e32 v35, v34, v35
	v_div_scale_f32 v34, null, v3, v3, v22
	v_rcp_f32_e32 v38, v29
	v_fmac_f32_e32 v30, v39, v28
	v_mul_f32_e32 v16, v25, v16
	v_rcp_f32_e32 v40, v34
	v_div_scale_f32 v25, null, v33, v33, v27
	v_fma_f32 v23, -v23, v30, v36
	v_mul_f32_e32 v39, v37, v35
	v_mul_f32_e32 v20, 0x40c00000, v20
	v_mul_f32_e32 v17, 4.0, v17
	v_fma_f32 v41, -v29, v38, 1.0
	v_div_fmas_f32 v23, v23, v28, v30
	v_mul_f32_e32 v28, v15, v15
	v_rcp_f32_e32 v30, v25
	v_mul_f32_e32 v15, v13, v15
	v_fma_f32 v36, -v31, v39, v37
	v_fmac_f32_e32 v38, v41, v38
	v_fmac_f32_e32 v16, v12, v28
	v_fma_f32 v28, -v34, v40, 1.0
	s_waitcnt lgkmcnt(1)
	v_fma_f32 v8, v8, v7, -v15
	v_fmac_f32_e32 v39, v36, v35
	v_div_scale_f32 v12, s1, v21, v26, v21
	v_mul_f32_e32 v16, v20, v16
	v_fmac_f32_e32 v40, v28, v40
	v_fma_f32 v36, -v25, v30, 1.0
	v_mul_f32_e32 v8, v17, v8
	v_fma_f32 v20, -v31, v39, v37
	v_div_scale_f32 v28, null, v26, v26, v16
	v_mul_f32_e32 v31, v12, v38
	v_fmac_f32_e32 v30, v36, v30
	v_div_scale_f32 v36, null, v3, v3, v8
	v_rcp_f32_e32 v15, v28
	v_div_scale_f32 v32, s2, v22, v3, v22
	s_mov_b32 vcc_lo, s0
	v_fma_f32 v17, -v29, v31, v12
	v_div_scale_f32 v37, s0, v27, v33, v27
	v_rcp_f32_e32 v41, v36
	v_div_fmas_f32 v20, v20, v35, v39
	v_mul_f32_e32 v35, v32, v40
	v_fma_f32 v39, -v28, v15, 1.0
	v_fmac_f32_e32 v31, v17, v38
	v_mul_f32_e32 v42, v37, v30
	v_add_f32_e32 v7, v13, v7
	v_fma_f32 v17, -v34, v35, v32
	v_fmac_f32_e32 v15, v39, v15
	v_div_scale_f32 v39, s3, v16, v26, v16
	v_fma_f32 v12, -v29, v31, v12
	v_fma_f32 v13, -v25, v42, v37
	v_fma_f32 v29, -v36, v41, 1.0
	v_fmac_f32_e32 v35, v17, v40
	v_mul_f32_e32 v17, v39, v15
	s_mov_b32 vcc_lo, s1
	v_fmac_f32_e32 v42, v13, v30
	v_fmac_f32_e32 v41, v29, v41
	v_div_scale_f32 v29, s1, v8, v3, v8
	v_div_fmas_f32 v12, v12, v38, v31
	v_fma_f32 v31, -v34, v35, v32
	v_fma_f32 v13, -v28, v17, v39
	;; [unrolled: 1-line block ×3, first 2 shown]
	v_mul_f32_e32 v32, v29, v41
	s_mov_b32 vcc_lo, s2
	v_div_fixup_f32 v12, v12, v26, v21
	v_div_fmas_f32 v31, v31, v40, v35
	s_mov_b32 vcc_lo, s0
	v_fmac_f32_e32 v17, v13, v15
	v_div_fmas_f32 v13, v25, v30, v42
	v_fma_f32 v25, -v36, v32, v29
	s_waitcnt lgkmcnt(0)
	v_add_f32_e32 v6, v14, v6
	s_mov_b32 vcc_lo, s3
	v_fma_f32 v14, -v28, v17, v39
	v_div_fixup_f32 v13, v13, v33, v27
	v_fmac_f32_e32 v32, v25, v41
	v_add_f32_e32 v7, v7, v12
	v_div_fmas_f32 v14, v14, v15, v17
	s_mov_b32 vcc_lo, s1
	v_fma_f32 v12, -v36, v32, v29
	v_div_fixup_f32 v15, v20, v3, v24
	v_add_f32_e32 v6, v6, v13
	v_div_fixup_f32 v13, v14, v26, v16
	v_div_fixup_f32 v14, v31, v3, v22
	v_div_fmas_f32 v12, v12, v41, v32
	v_div_fixup_f32 v16, v23, v3, v19
	v_add_f32_e32 v17, v18, v15
	v_add_f32_e32 v6, v13, v6
	;; [unrolled: 1-line block ×3, first 2 shown]
	v_div_fixup_f32 v8, v12, v3, v8
	v_cmp_lt_f32_e32 vcc_lo, v10, v5
	v_add_f32_e32 v11, v11, v16
	v_mov_b32_e32 v12, v17
	v_mov_b32_e32 v13, v18
	v_add_f32_e32 v14, v8, v6
	v_cndmask_b32_e32 v10, v10, v5, vcc_lo
	v_mov_b32_e32 v8, v3
.LBB35_119:
	s_or_b32 exec_lo, exec_lo, s20
	v_cmp_gt_u32_e32 vcc_lo, 6, v2
	s_waitcnt lgkmcnt(3)
	v_add_nc_u32_e32 v20, 2, v2
	s_mov_b32 s20, exec_lo
	v_cndmask_b32_e64 v5, 0, 2, vcc_lo
	v_add_lshl_u32 v5, v5, v1, 2
	s_waitcnt lgkmcnt(1)
	ds_bpermute_b32 v7, v5, v3
	ds_bpermute_b32 v16, v5, v9
	;; [unrolled: 1-line block ×5, first 2 shown]
	s_waitcnt lgkmcnt(5)
	ds_bpermute_b32 v6, v5, v18
	ds_bpermute_b32 v5, v5, v14
	v_cmpx_gt_u32_e64 s4, v20
	s_cbranch_execz .LBB35_121
; %bb.120:
	s_waitcnt lgkmcnt(3)
	v_sub_f32_e32 v17, v19, v11
	v_add_f32_e32 v3, v8, v7
	v_cmp_gt_f32_e32 vcc_lo, v9, v16
	v_sub_f32_e32 v20, v8, v7
	v_mul_f32_e32 v21, v12, v7
	v_mul_f32_e32 v18, v17, v7
	v_mul_f32_e32 v19, v17, v17
	v_cndmask_b32_e32 v9, v9, v16, vcc_lo
	v_mul_f32_e32 v24, v8, v8
	v_mul_f32_e32 v28, 0x40400000, v17
	v_div_scale_f32 v22, null, v3, v3, v18
	v_mul_f32_e32 v23, v8, v19
	v_mul_f32_e32 v26, v17, v19
	v_div_scale_f32 v35, vcc_lo, v18, v3, v18
	v_rcp_f32_e32 v27, v22
	v_mul_f32_e32 v23, v23, v7
	v_mul_f32_e32 v29, v8, v26
	;; [unrolled: 1-line block ×3, first 2 shown]
	s_waitcnt lgkmcnt(2)
	v_fma_f32 v21, v8, v15, -v21
	v_fma_f32 v31, -v8, v7, v24
	v_div_scale_f32 v30, null, v3, v3, v23
	v_mul_f32_e32 v29, v29, v7
	v_mul_f32_e32 v26, v8, v26
	v_fma_f32 v33, -v22, v27, 1.0
	v_rcp_f32_e32 v34, v30
	v_mul_f32_e32 v25, v3, v3
	v_mul_f32_e32 v20, v20, v29
	;; [unrolled: 1-line block ×3, first 2 shown]
	v_fmac_f32_e32 v27, v33, v27
	v_fmac_f32_e32 v31, v7, v7
	v_mul_f32_e32 v26, v26, v7
	v_mul_f32_e32 v32, v3, v25
	v_div_scale_f32 v28, null, v25, v25, v20
	v_mul_f32_e32 v29, v35, v27
	v_fma_f32 v33, -v30, v34, 1.0
	v_mul_f32_e32 v26, v31, v26
	v_add_f32_e32 v16, v12, v15
	v_div_scale_f32 v36, s0, v23, v3, v23
	v_fma_f32 v38, -v22, v29, v35
	v_fmac_f32_e32 v34, v33, v34
	v_div_scale_f32 v33, null, v3, v3, v21
	v_rcp_f32_e32 v37, v28
	v_fmac_f32_e32 v29, v38, v27
	v_mul_f32_e32 v15, v24, v15
	v_rcp_f32_e32 v39, v33
	v_div_scale_f32 v24, null, v32, v32, v26
	v_fma_f32 v22, -v22, v29, v35
	v_mul_f32_e32 v38, v36, v34
	v_mul_f32_e32 v19, 0x40c00000, v19
	v_mul_f32_e32 v17, 4.0, v17
	v_fma_f32 v40, -v28, v37, 1.0
	v_div_fmas_f32 v22, v22, v27, v29
	v_mul_f32_e32 v27, v7, v7
	v_rcp_f32_e32 v29, v24
	v_mul_f32_e32 v7, v13, v7
	v_fma_f32 v35, -v30, v38, v36
	v_fmac_f32_e32 v37, v40, v37
	v_fmac_f32_e32 v15, v12, v27
	v_fma_f32 v27, -v33, v39, 1.0
	s_waitcnt lgkmcnt(1)
	v_fma_f32 v7, v8, v6, -v7
	v_fmac_f32_e32 v38, v35, v34
	v_div_scale_f32 v12, s1, v20, v25, v20
	v_mul_f32_e32 v15, v19, v15
	v_fmac_f32_e32 v39, v27, v39
	v_fma_f32 v35, -v24, v29, 1.0
	v_mul_f32_e32 v7, v17, v7
	v_fma_f32 v19, -v30, v38, v36
	v_div_scale_f32 v27, null, v25, v25, v15
	v_mul_f32_e32 v30, v12, v37
	v_fmac_f32_e32 v29, v35, v29
	v_div_scale_f32 v35, null, v3, v3, v7
	v_rcp_f32_e32 v8, v27
	v_div_scale_f32 v31, s2, v21, v3, v21
	s_mov_b32 vcc_lo, s0
	v_fma_f32 v17, -v28, v30, v12
	v_div_scale_f32 v36, s0, v26, v32, v26
	v_rcp_f32_e32 v40, v35
	v_div_fmas_f32 v19, v19, v34, v38
	v_mul_f32_e32 v34, v31, v39
	v_fma_f32 v38, -v27, v8, 1.0
	v_fmac_f32_e32 v30, v17, v37
	v_mul_f32_e32 v41, v36, v29
	v_add_f32_e32 v6, v13, v6
	v_fma_f32 v17, -v33, v34, v31
	v_fmac_f32_e32 v8, v38, v8
	v_div_scale_f32 v38, s3, v15, v25, v15
	v_fma_f32 v12, -v28, v30, v12
	v_fma_f32 v13, -v24, v41, v36
	v_fma_f32 v28, -v35, v40, 1.0
	v_fmac_f32_e32 v34, v17, v39
	v_mul_f32_e32 v17, v38, v8
	s_mov_b32 vcc_lo, s1
	v_fmac_f32_e32 v41, v13, v29
	v_fmac_f32_e32 v40, v28, v40
	v_div_scale_f32 v28, s1, v7, v3, v7
	v_div_fmas_f32 v12, v12, v37, v30
	v_fma_f32 v30, -v33, v34, v31
	v_fma_f32 v13, -v27, v17, v38
	;; [unrolled: 1-line block ×3, first 2 shown]
	v_mul_f32_e32 v31, v28, v40
	s_mov_b32 vcc_lo, s2
	v_div_fixup_f32 v12, v12, v25, v20
	v_div_fmas_f32 v30, v30, v39, v34
	s_mov_b32 vcc_lo, s0
	v_fmac_f32_e32 v17, v13, v8
	v_div_fmas_f32 v13, v24, v29, v41
	v_fma_f32 v24, -v35, v31, v28
	s_waitcnt lgkmcnt(0)
	v_add_f32_e32 v5, v14, v5
	s_mov_b32 vcc_lo, s3
	v_fma_f32 v14, -v27, v17, v38
	v_div_fixup_f32 v13, v13, v32, v26
	v_fmac_f32_e32 v31, v24, v40
	v_add_f32_e32 v6, v6, v12
	v_div_fmas_f32 v8, v14, v8, v17
	s_mov_b32 vcc_lo, s1
	v_fma_f32 v12, -v35, v31, v28
	v_div_fixup_f32 v14, v19, v3, v23
	v_add_f32_e32 v5, v5, v13
	v_div_fixup_f32 v8, v8, v25, v15
	v_div_fixup_f32 v13, v30, v3, v21
	v_div_fmas_f32 v12, v12, v40, v31
	v_div_fixup_f32 v15, v22, v3, v18
	v_add_f32_e32 v17, v16, v14
	v_add_f32_e32 v5, v8, v5
	;; [unrolled: 1-line block ×3, first 2 shown]
	v_div_fixup_f32 v7, v12, v3, v7
	v_cmp_lt_f32_e32 vcc_lo, v10, v1
	v_add_f32_e32 v11, v11, v15
	v_mov_b32_e32 v12, v17
	v_mov_b32_e32 v13, v18
	v_add_f32_e32 v14, v7, v5
	v_cndmask_b32_e32 v10, v10, v1, vcc_lo
	v_mov_b32_e32 v8, v3
.LBB35_121:
	s_or_b32 exec_lo, exec_lo, s20
	s_waitcnt lgkmcnt(0)
	v_or_b32_e32 v5, 16, v4
	v_add_nc_u32_e32 v2, 4, v2
	s_mov_b32 s20, exec_lo
	ds_bpermute_b32 v6, v5, v3
	ds_bpermute_b32 v7, v5, v9
	;; [unrolled: 1-line block ×7, first 2 shown]
	v_cmpx_gt_u32_e64 s4, v2
	s_cbranch_execz .LBB35_123
; %bb.122:
	s_waitcnt lgkmcnt(3)
	v_sub_f32_e32 v2, v15, v11
	v_cmp_gt_f32_e32 vcc_lo, v9, v7
	v_add_f32_e32 v15, v8, v6
	v_sub_f32_e32 v16, v8, v6
	v_mul_f32_e32 v20, v8, v8
	v_mul_f32_e32 v18, v2, v2
	v_cndmask_b32_e32 v9, v9, v7, vcc_lo
	v_mul_f32_e32 v7, v2, v6
	v_mul_f32_e32 v17, v12, v6
	v_fma_f32 v27, -v8, v6, v20
	v_mul_f32_e32 v22, v8, v18
	v_mul_f32_e32 v23, v2, v18
	v_div_scale_f32 v19, null, v15, v15, v7
	v_div_scale_f32 v31, vcc_lo, v7, v15, v7
	v_mul_f32_e32 v22, v22, v6
	v_rcp_f32_e32 v24, v19
	v_mul_f32_e32 v26, v8, v23
	v_mul_f32_e32 v23, v2, v23
	;; [unrolled: 1-line block ×3, first 2 shown]
	v_div_scale_f32 v29, null, v15, v15, v22
	v_mul_f32_e32 v26, v26, v6
	v_mul_f32_e32 v23, v8, v23
	;; [unrolled: 1-line block ×3, first 2 shown]
	v_rcp_f32_e32 v32, v29
	v_fma_f32 v30, -v19, v24, 1.0
	v_mul_f32_e32 v16, v16, v26
	s_waitcnt lgkmcnt(2)
	v_fma_f32 v17, v8, v4, -v17
	v_div_scale_f32 v36, s0, v22, v15, v22
	v_fmac_f32_e32 v24, v30, v24
	v_fmac_f32_e32 v27, v6, v6
	v_mul_f32_e32 v23, v23, v6
	v_mul_f32_e32 v20, v20, v4
	v_fma_f32 v33, -v29, v32, 1.0
	v_mul_f32_e32 v26, v31, v24
	v_mul_f32_e32 v28, v15, v21
	;; [unrolled: 1-line block ×3, first 2 shown]
	v_div_scale_f32 v25, null, v21, v21, v16
	v_fma_f32 v35, -v19, v26, v31
	v_fmac_f32_e32 v32, v33, v32
	v_mul_f32_e32 v23, v27, v23
	v_mul_f32_e32 v18, 0x40c00000, v18
	v_div_scale_f32 v30, null, v15, v15, v17
	v_fmac_f32_e32 v26, v35, v24
	v_mul_f32_e32 v35, v36, v32
	v_rcp_f32_e32 v34, v25
	v_rcp_f32_e32 v33, v30
	v_mul_f32_e32 v2, 4.0, v2
	v_fma_f32 v19, -v19, v26, v31
	v_mul_f32_e32 v31, v6, v6
	v_mul_f32_e32 v6, v13, v6
	v_add_f32_e32 v4, v12, v4
	s_waitcnt lgkmcnt(0)
	v_add_f32_e32 v5, v14, v5
	v_div_fmas_f32 v19, v19, v24, v26
	v_fmac_f32_e32 v20, v12, v31
	v_div_scale_f32 v24, null, v28, v28, v23
	v_fma_f32 v26, -v29, v35, v36
	v_fma_f32 v37, -v25, v34, 1.0
	v_mul_f32_e32 v18, v18, v20
	v_rcp_f32_e32 v31, v24
	v_fma_f32 v6, v8, v3, -v6
	v_fmac_f32_e32 v35, v26, v32
	v_fmac_f32_e32 v34, v37, v34
	v_div_scale_f32 v26, null, v21, v21, v18
	v_div_fixup_f32 v7, v19, v15, v7
	v_div_scale_f32 v19, s1, v16, v21, v16
	v_rcp_f32_e32 v38, v26
	v_fma_f32 v27, -v30, v33, 1.0
	v_fma_f32 v37, -v24, v31, 1.0
	v_mul_f32_e32 v2, v2, v6
	v_mul_f32_e32 v20, v19, v34
	v_fma_f32 v8, -v29, v35, v36
	v_fmac_f32_e32 v33, v27, v33
	v_div_scale_f32 v27, s2, v17, v15, v17
	v_fmac_f32_e32 v31, v37, v31
	v_fma_f32 v37, -v26, v38, 1.0
	v_div_scale_f32 v39, null, v15, v15, v2
	v_fma_f32 v29, -v25, v20, v19
	v_mul_f32_e32 v36, v27, v33
	v_div_scale_f32 v6, s3, v23, v28, v23
	v_fmac_f32_e32 v38, v37, v38
	v_rcp_f32_e32 v37, v39
	v_fmac_f32_e32 v20, v29, v34
	v_fma_f32 v29, -v30, v36, v27
	v_mul_f32_e32 v40, v6, v31
	s_mov_b32 vcc_lo, s0
	v_div_scale_f32 v41, s4, v18, v21, v18
	v_div_fmas_f32 v8, v8, v32, v35
	v_fma_f32 v19, -v25, v20, v19
	v_fmac_f32_e32 v36, v29, v33
	v_fma_f32 v25, -v24, v40, v6
	v_fma_f32 v32, -v39, v37, 1.0
	s_mov_b32 vcc_lo, s1
	v_mul_f32_e32 v29, v41, v38
	v_div_fmas_f32 v19, v19, v34, v20
	v_fma_f32 v20, -v30, v36, v27
	v_fmac_f32_e32 v40, v25, v31
	v_fmac_f32_e32 v37, v32, v37
	v_div_scale_f32 v27, s0, v2, v15, v2
	v_fma_f32 v25, -v26, v29, v41
	v_fma_f32 v6, -v24, v40, v6
	s_mov_b32 vcc_lo, s2
	v_mul_f32_e32 v24, v27, v37
	v_div_fmas_f32 v20, v20, v33, v36
	v_fmac_f32_e32 v29, v25, v38
	s_mov_b32 vcc_lo, s3
	v_add_f32_e32 v3, v13, v3
	v_fma_f32 v25, -v39, v24, v27
	v_div_fmas_f32 v6, v6, v31, v40
	v_fma_f32 v12, -v26, v29, v41
	s_mov_b32 vcc_lo, s4
	v_div_fixup_f32 v13, v19, v21, v16
	v_fmac_f32_e32 v24, v25, v37
	v_div_fixup_f32 v6, v6, v28, v23
	v_div_fmas_f32 v12, v12, v38, v29
	s_mov_b32 vcc_lo, s0
	v_div_fixup_f32 v8, v8, v15, v22
	v_fma_f32 v14, -v39, v24, v27
	v_add_f32_e32 v5, v5, v6
	v_div_fixup_f32 v6, v12, v21, v18
	v_add_f32_e32 v3, v3, v13
	v_div_fixup_f32 v13, v20, v15, v17
	v_div_fmas_f32 v12, v14, v37, v24
	v_cmp_lt_f32_e32 vcc_lo, v10, v1
	v_add_f32_e32 v5, v6, v5
	v_add_f32_e32 v11, v11, v7
	;; [unrolled: 1-line block ×3, first 2 shown]
	v_div_fixup_f32 v2, v12, v15, v2
	v_cndmask_b32_e32 v10, v10, v1, vcc_lo
	v_add_f32_e32 v12, v4, v8
	v_mov_b32_e32 v8, v15
	v_add_f32_e32 v14, v2, v5
.LBB35_123:
	s_or_b32 exec_lo, exec_lo, s20
.LBB35_124:
	s_or_b32 exec_lo, exec_lo, s5
.LBB35_125:
	s_mov_b32 s5, exec_lo
                                        ; implicit-def: $vgpr7
                                        ; implicit-def: $vgpr4
	v_cmpx_eq_u32_e32 0, v0
	s_cbranch_execz .LBB35_129
; %bb.126:
	s_waitcnt lgkmcnt(5)
	v_mov_b32_e32 v7, s18
	v_mov_b32_e32 v6, s17
	s_waitcnt lgkmcnt(0)
	v_mov_b32_e32 v5, s16
	v_mov_b32_e32 v4, s15
	;; [unrolled: 1-line block ×5, first 2 shown]
	s_cmp_eq_u64 s[8:9], 0
	s_cbranch_scc1 .LBB35_128
; %bb.127:
	v_subrev_f32_e32 v0, s15, v11
	v_add_f32_e32 v1, s12, v8
	v_cmp_gt_f32_e32 vcc_lo, s13, v9
	v_mul_f32_e32 v5, s16, v8
	v_sub_f32_e32 v4, s12, v8
	v_mul_f32_e32 v3, v0, v8
	v_mul_f32_e32 v6, v0, v0
	v_cndmask_b32_e32 v2, s13, v9, vcc_lo
	v_mul_f32_e32 v19, 0x40400000, v0
	v_fma_f32 v5, s12, v12, -v5
	v_div_scale_f32 v7, null, v1, v1, v3
	v_mul_f32_e32 v15, s12, v6
	v_div_scale_f32 v24, vcc_lo, v3, v1, v3
	v_rcp_f32_e32 v17, v7
	v_mul_f32_e32 v16, v0, v6
	v_mul_f32_e32 v15, v8, v15
	v_mul_f32_e64 v9, s12, s12
	v_mul_f32_e32 v5, v19, v5
	v_mul_f32_e32 v11, v8, v8
	v_mul_f32_e32 v20, s12, v16
	v_div_scale_f32 v22, null, v1, v1, v15
	v_mul_f32_e32 v16, v0, v16
	v_fma_f32 v23, -v7, v17, 1.0
	v_fma_f32 v21, -s12, v8, v9
	v_rcp_f32_e32 v25, v22
	v_mul_f32_e32 v20, v8, v20
	v_mul_f32_e32 v16, s12, v16
	v_fmac_f32_e32 v17, v23, v17
	v_mul_f32_e32 v18, v1, v1
	v_fmac_f32_e32 v21, v8, v8
	v_mul_f32_e32 v4, v4, v20
	v_mul_f32_e32 v16, v8, v16
	;; [unrolled: 1-line block ×4, first 2 shown]
	v_fma_f32 v26, -v22, v25, 1.0
	v_mul_f32_e32 v20, v1, v18
	v_div_scale_f32 v19, null, v18, v18, v4
	v_fma_f32 v28, -v7, v23, v24
	v_fmac_f32_e32 v25, v26, v25
	v_div_scale_f32 v26, null, v1, v1, v5
	v_mul_f32_e32 v16, v21, v16
	v_fmac_f32_e32 v23, v28, v17
	v_fmac_f32_e32 v11, v9, v12
	v_rcp_f32_e32 v27, v19
	v_div_scale_f32 v29, s0, v15, v1, v15
	v_fma_f32 v7, -v7, v23, v24
	v_rcp_f32_e32 v24, v26
	v_mul_f32_e32 v8, s17, v8
	v_mul_f32_e32 v28, v29, v25
	v_mul_f32_e32 v0, 4.0, v0
	v_div_fmas_f32 v7, v7, v17, v23
	v_div_scale_f32 v17, null, v20, v20, v16
	v_fma_f32 v30, -v19, v27, 1.0
	v_fma_f32 v8, s12, v13, -v8
	v_div_fixup_f32 v7, v7, v1, v3
	v_mul_f32_e32 v3, 0x40c00000, v6
	v_fma_f32 v9, -v26, v24, 1.0
	v_rcp_f32_e32 v23, v17
	v_fma_f32 v21, -v22, v28, v29
	v_fmac_f32_e32 v27, v30, v27
	v_mul_f32_e32 v3, v3, v11
	v_fmac_f32_e32 v24, v9, v24
	v_div_scale_f32 v6, s1, v4, v18, v4
	v_mul_f32_e32 v0, v0, v8
	v_div_scale_f32 v9, null, v18, v18, v3
	v_fma_f32 v30, -v17, v23, 1.0
	v_fmac_f32_e32 v28, v21, v25
	v_mul_f32_e32 v11, v6, v27
	v_rcp_f32_e32 v31, v9
	v_div_scale_f32 v21, s2, v5, v1, v5
	v_fmac_f32_e32 v23, v30, v23
	v_div_scale_f32 v33, null, v1, v1, v0
	v_fma_f32 v22, -v22, v28, v29
	v_fma_f32 v29, -v19, v11, v6
	v_mul_f32_e32 v32, v21, v24
	v_div_scale_f32 v8, s3, v16, v20, v16
	v_fma_f32 v30, -v9, v31, 1.0
	v_fmac_f32_e32 v11, v29, v27
	v_fma_f32 v29, -v26, v32, v21
	v_mul_f32_e32 v34, v8, v23
	s_mov_b32 vcc_lo, s0
	v_fmac_f32_e32 v31, v30, v31
	v_rcp_f32_e32 v30, v33
	v_div_scale_f32 v35, s4, v3, v18, v3
	v_div_fmas_f32 v22, v22, v25, v28
	v_fma_f32 v6, -v19, v11, v6
	v_fmac_f32_e32 v32, v29, v24
	v_fma_f32 v19, -v17, v34, v8
	s_mov_b32 vcc_lo, s1
	v_mul_f32_e32 v25, v35, v31
	v_div_fmas_f32 v6, v6, v27, v11
	v_fma_f32 v28, -v33, v30, 1.0
	v_fma_f32 v11, -v26, v32, v21
	v_fmac_f32_e32 v34, v19, v23
	v_div_scale_f32 v21, s0, v0, v1, v0
	v_fmac_f32_e32 v30, v28, v30
	v_fma_f32 v19, -v9, v25, v35
	v_fma_f32 v8, -v17, v34, v8
	s_mov_b32 vcc_lo, s2
	v_add_f32_e32 v14, s18, v14
	v_mul_f32_e32 v17, v21, v30
	v_fmac_f32_e32 v25, v19, v31
	v_div_fmas_f32 v11, v11, v24, v32
	s_mov_b32 vcc_lo, s3
	v_div_fixup_f32 v4, v6, v18, v4
	v_fma_f32 v19, -v33, v17, v21
	v_div_fmas_f32 v8, v8, v23, v34
	v_fma_f32 v9, -v9, v25, v35
	s_mov_b32 vcc_lo, s4
	v_add_f32_e32 v13, s17, v13
	v_fmac_f32_e32 v17, v19, v30
	v_div_fixup_f32 v8, v8, v20, v16
	v_div_fmas_f32 v9, v9, v31, v25
	s_mov_b32 vcc_lo, s0
	v_add_f32_e32 v12, s16, v12
	v_fma_f32 v6, -v33, v17, v21
	v_add_f32_e32 v8, v14, v8
	v_div_fixup_f32 v3, v9, v18, v3
	v_div_fixup_f32 v9, v22, v1, v15
	v_add_f32_e32 v13, v13, v4
	v_div_fmas_f32 v6, v6, v30, v17
	v_div_fixup_f32 v11, v11, v1, v5
	v_add_f32_e32 v8, v3, v8
	v_cmp_lt_f32_e32 vcc_lo, s14, v10
	v_add_f32_e32 v4, s15, v7
	v_div_fixup_f32 v0, v6, v1, v0
	v_add_f32_e32 v5, v12, v9
	v_add_f32_e32 v6, v11, v13
	v_cndmask_b32_e32 v3, s14, v10, vcc_lo
	v_add_f32_e32 v7, v0, v8
.LBB35_128:
	s_or_b32 s19, s19, exec_lo
.LBB35_129:
	s_or_b32 exec_lo, exec_lo, s5
	s_and_saveexec_b32 s0, s19
	s_cbranch_execz .LBB35_100
.LBB35_130:
	s_mul_i32 s0, s7, 28
	s_mul_hi_u32 s1, s6, 28
	s_mul_i32 s2, s6, 28
	v_mov_b32_e32 v0, 0
	s_add_i32 s1, s1, s0
	s_add_u32 s0, s10, s2
	s_addc_u32 s1, s11, s1
	s_waitcnt lgkmcnt(0)
	global_store_dwordx4 v0, v[1:4], s[0:1]
	global_store_dwordx3 v0, v[5:7], s[0:1] offset:16
	s_endpgm
.LBB35_131:
	v_sub_f32_e32 v4, v3, v11
	v_mov_b32_e32 v7, 0
	v_cmp_lt_f32_e64 s1, v3, v11
	v_mul_f32_e32 v5, v4, v4
	v_mul_f32_e32 v10, 0x40400000, v4
	v_mul_f32_e32 v12, 4.0, v4
	v_mul_f32_e32 v6, v4, v5
	v_mul_f32_e32 v8, 0x40c00000, v5
	;; [unrolled: 1-line block ×3, first 2 shown]
	v_mul_f32_e32 v12, 0.5, v5
	v_mul_f32_e32 v9, v4, v6
	v_mul_f32_e32 v6, 0, v6
	;; [unrolled: 1-line block ×3, first 2 shown]
	v_fmamk_f32 v14, v9, 0x3e000000, v7
	v_cndmask_b32_e64 v9, v11, v3, s1
	v_mul_f32_e32 v7, 0, v10
	v_fma_f32 v13, 0x3e800000, v6, 0
	v_cmp_lt_f32_e64 s1, v11, v3
	v_fmac_f32_e32 v14, 0x3e800000, v8
	v_mov_b32_e32 v8, 2.0
	v_fmac_f32_e32 v13, 0.5, v7
	v_cndmask_b32_e64 v10, v11, v3, s1
	v_fmac_f32_e32 v11, 0.5, v4
	v_fmac_f32_e32 v14, 0.5, v15
	s_or_b32 exec_lo, exec_lo, s2
	s_and_saveexec_b32 s19, vcc_lo
	s_cbranch_execz .LBB35_31
.LBB35_132:
	v_sub_f32_e32 v3, v2, v11
	v_add_f32_e32 v5, 1.0, v8
	v_cmp_lt_f32_e32 vcc_lo, v2, v9
	v_add_f32_e32 v15, -1.0, v8
	v_fma_f32 v19, v8, v8, -v8
	v_mul_f32_e32 v4, v3, v3
	v_div_scale_f32 v7, null, v5, v5, v3
	v_cndmask_b32_e32 v9, v9, v2, vcc_lo
	v_div_scale_f32 v22, vcc_lo, v3, v5, v3
	v_mul_f32_e32 v6, v4, v8
	v_rcp_f32_e32 v17, v7
	v_mul_f32_e32 v23, 0x40400000, v3
	v_mul_f32_e32 v24, 4.0, v3
	v_mul_f32_e32 v27, v3, v4
	v_div_scale_f32 v16, null, v5, v5, v6
	v_mul_f32_e64 v23, -v12, v23
	v_mul_f32_e64 v24, v24, -v13
	v_mul_f32_e32 v29, v3, v27
	v_rcp_f32_e32 v20, v16
	v_fma_f32 v25, -v7, v17, 1.0
	v_mul_f32_e32 v27, v8, v27
	v_mul_f32_e32 v21, v5, v5
	v_div_scale_f32 v32, null, v5, v5, v23
	v_fmac_f32_e32 v17, v25, v17
	v_div_scale_f32 v25, s1, v6, v5, v6
	v_div_scale_f32 v34, null, v5, v5, v24
	v_fma_f32 v28, -v16, v20, 1.0
	v_mul_f32_e32 v15, v15, v27
	v_mul_f32_e32 v18, v8, v8
	v_add_f32_e32 v19, 1.0, v19
	v_rcp_f32_e32 v27, v32
	v_fmac_f32_e32 v20, v28, v20
	v_mul_f32_e32 v28, v22, v17
	v_mul_f32_e32 v8, v8, v29
	;; [unrolled: 1-line block ×5, first 2 shown]
	v_fma_f32 v31, -v7, v28, v22
	v_mul_f32_e32 v8, v8, v19
	v_add_f32_e32 v14, 0, v14
	v_fma_f32 v19, -v32, v27, 1.0
	v_fma_f32 v33, -v16, v30, v25
	v_fmac_f32_e32 v28, v31, v17
	v_div_scale_f32 v37, s3, v8, v26, v8
	v_fmac_f32_e32 v27, v19, v27
	v_fmac_f32_e32 v30, v33, v20
	v_fma_f32 v7, -v7, v28, v22
	v_rcp_f32_e32 v22, v34
	v_fma_f32 v16, -v16, v30, v25
	v_div_fmas_f32 v7, v7, v17, v28
	s_mov_b32 vcc_lo, s1
	v_div_scale_f32 v17, null, v21, v21, v15
	v_div_fmas_f32 v16, v16, v20, v30
	v_div_scale_f32 v25, null, v26, v26, v8
	v_div_scale_f32 v20, s1, v23, v5, v23
	v_div_fixup_f32 v6, v16, v5, v6
	v_rcp_f32_e32 v16, v17
	v_div_scale_f32 v29, vcc_lo, v15, v21, v15
	v_div_scale_f32 v28, s2, v24, v5, v24
	v_add_f32_e32 v6, v12, v6
	v_fmac_f32_e32 v12, 0, v18
	v_fma_f32 v18, -v34, v22, 1.0
	v_mul_f32_e32 v4, v4, v12
	v_rcp_f32_e32 v12, v25
	v_fmac_f32_e32 v22, v18, v22
	v_fma_f32 v18, -v17, v16, 1.0
	v_div_scale_f32 v19, null, v21, v21, v4
	v_mul_f32_e32 v30, v28, v22
	v_fmac_f32_e32 v16, v18, v16
	v_mul_f32_e32 v18, v20, v27
	v_rcp_f32_e32 v31, v19
	v_fma_f32 v33, -v25, v12, 1.0
	v_fma_f32 v38, -v34, v30, v28
	v_mul_f32_e32 v35, v29, v16
	v_fma_f32 v36, -v32, v18, v20
	v_fmac_f32_e32 v12, v33, v12
	v_fmac_f32_e32 v30, v38, v22
	v_fma_f32 v33, -v17, v35, v29
	v_fmac_f32_e32 v18, v36, v27
	v_fma_f32 v36, -v19, v31, 1.0
	v_mul_f32_e32 v39, v37, v12
	v_fmac_f32_e32 v35, v33, v16
	v_div_scale_f32 v33, s4, v4, v21, v4
	v_fmac_f32_e32 v31, v36, v31
	v_fma_f32 v36, -v25, v39, v37
	v_fma_f32 v17, -v17, v35, v29
	;; [unrolled: 1-line block ×3, first 2 shown]
	v_mul_f32_e32 v29, v33, v31
	v_fmac_f32_e32 v39, v36, v12
	v_div_fmas_f32 v16, v17, v16, v35
	s_mov_b32 vcc_lo, s1
	v_fma_f32 v17, -v19, v29, v33
	v_fma_f32 v25, -v25, v39, v37
	v_div_fmas_f32 v18, v20, v27, v18
	s_mov_b32 vcc_lo, s3
	v_div_fixup_f32 v15, v16, v21, v15
	v_fmac_f32_e32 v29, v17, v31
	v_div_fmas_f32 v12, v25, v12, v39
	v_div_fixup_f32 v17, v18, v5, v23
	s_mov_b32 vcc_lo, s4
	v_fma_f32 v16, -v34, v30, v28
	v_fma_f32 v18, -v19, v29, v33
	v_div_fixup_f32 v8, v12, v26, v8
	v_add_f32_e32 v12, v13, v15
	v_div_fmas_f32 v13, v18, v31, v29
	s_mov_b32 vcc_lo, s2
	v_add_f32_e32 v8, v14, v8
	v_div_fmas_f32 v14, v16, v22, v30
	v_cmp_lt_f32_e32 vcc_lo, v10, v2
	v_div_fixup_f32 v4, v13, v21, v4
	v_add_f32_e32 v13, v17, v12
	v_mov_b32_e32 v12, v6
	v_cndmask_b32_e32 v10, v10, v2, vcc_lo
	v_div_fixup_f32 v2, v7, v5, v3
	v_div_fixup_f32 v3, v14, v5, v24
	v_add_f32_e32 v4, v4, v8
	v_mov_b32_e32 v8, v5
	v_add_f32_e32 v11, v11, v2
	v_add_f32_e32 v14, v3, v4
	s_or_b32 exec_lo, exec_lo, s19
	s_and_saveexec_b32 s19, s0
	s_cbranch_execnz .LBB35_32
	s_branch .LBB35_33
	.section	.rodata,"a",@progbits
	.p2align	6, 0x0
	.amdhsa_kernel _ZN7rocprim17ROCPRIM_400000_NS6detail17trampoline_kernelINS0_14default_configENS1_22reduce_config_selectorI18summary_stats_dataIfEEEZNS1_11reduce_implILb1ES3_N6thrust23THRUST_200600_302600_NS11hip_rocprim26transform_input_iterator_tIS6_NSA_6detail15normal_iteratorINSA_10device_ptrIfEEEE22summary_stats_unary_opIfEEEPS6_S6_23summary_stats_binary_opIfEEE10hipError_tPvRmT1_T2_T3_mT4_P12ihipStream_tbEUlT_E1_NS1_11comp_targetILNS1_3genE8ELNS1_11target_archE1030ELNS1_3gpuE2ELNS1_3repE0EEENS1_30default_config_static_selectorELNS0_4arch9wavefront6targetE0EEEvSR_
		.amdhsa_group_segment_fixed_size 896
		.amdhsa_private_segment_fixed_size 0
		.amdhsa_kernarg_size 72
		.amdhsa_user_sgpr_count 6
		.amdhsa_user_sgpr_private_segment_buffer 1
		.amdhsa_user_sgpr_dispatch_ptr 0
		.amdhsa_user_sgpr_queue_ptr 0
		.amdhsa_user_sgpr_kernarg_segment_ptr 1
		.amdhsa_user_sgpr_dispatch_id 0
		.amdhsa_user_sgpr_flat_scratch_init 0
		.amdhsa_user_sgpr_private_segment_size 0
		.amdhsa_wavefront_size32 1
		.amdhsa_uses_dynamic_stack 0
		.amdhsa_system_sgpr_private_segment_wavefront_offset 0
		.amdhsa_system_sgpr_workgroup_id_x 1
		.amdhsa_system_sgpr_workgroup_id_y 0
		.amdhsa_system_sgpr_workgroup_id_z 0
		.amdhsa_system_sgpr_workgroup_info 0
		.amdhsa_system_vgpr_workitem_id 0
		.amdhsa_next_free_vgpr 62
		.amdhsa_next_free_sgpr 28
		.amdhsa_reserve_vcc 1
		.amdhsa_reserve_flat_scratch 0
		.amdhsa_float_round_mode_32 0
		.amdhsa_float_round_mode_16_64 0
		.amdhsa_float_denorm_mode_32 3
		.amdhsa_float_denorm_mode_16_64 3
		.amdhsa_dx10_clamp 1
		.amdhsa_ieee_mode 1
		.amdhsa_fp16_overflow 0
		.amdhsa_workgroup_processor_mode 1
		.amdhsa_memory_ordered 1
		.amdhsa_forward_progress 1
		.amdhsa_shared_vgpr_count 0
		.amdhsa_exception_fp_ieee_invalid_op 0
		.amdhsa_exception_fp_denorm_src 0
		.amdhsa_exception_fp_ieee_div_zero 0
		.amdhsa_exception_fp_ieee_overflow 0
		.amdhsa_exception_fp_ieee_underflow 0
		.amdhsa_exception_fp_ieee_inexact 0
		.amdhsa_exception_int_div_zero 0
	.end_amdhsa_kernel
	.section	.text._ZN7rocprim17ROCPRIM_400000_NS6detail17trampoline_kernelINS0_14default_configENS1_22reduce_config_selectorI18summary_stats_dataIfEEEZNS1_11reduce_implILb1ES3_N6thrust23THRUST_200600_302600_NS11hip_rocprim26transform_input_iterator_tIS6_NSA_6detail15normal_iteratorINSA_10device_ptrIfEEEE22summary_stats_unary_opIfEEEPS6_S6_23summary_stats_binary_opIfEEE10hipError_tPvRmT1_T2_T3_mT4_P12ihipStream_tbEUlT_E1_NS1_11comp_targetILNS1_3genE8ELNS1_11target_archE1030ELNS1_3gpuE2ELNS1_3repE0EEENS1_30default_config_static_selectorELNS0_4arch9wavefront6targetE0EEEvSR_,"axG",@progbits,_ZN7rocprim17ROCPRIM_400000_NS6detail17trampoline_kernelINS0_14default_configENS1_22reduce_config_selectorI18summary_stats_dataIfEEEZNS1_11reduce_implILb1ES3_N6thrust23THRUST_200600_302600_NS11hip_rocprim26transform_input_iterator_tIS6_NSA_6detail15normal_iteratorINSA_10device_ptrIfEEEE22summary_stats_unary_opIfEEEPS6_S6_23summary_stats_binary_opIfEEE10hipError_tPvRmT1_T2_T3_mT4_P12ihipStream_tbEUlT_E1_NS1_11comp_targetILNS1_3genE8ELNS1_11target_archE1030ELNS1_3gpuE2ELNS1_3repE0EEENS1_30default_config_static_selectorELNS0_4arch9wavefront6targetE0EEEvSR_,comdat
.Lfunc_end35:
	.size	_ZN7rocprim17ROCPRIM_400000_NS6detail17trampoline_kernelINS0_14default_configENS1_22reduce_config_selectorI18summary_stats_dataIfEEEZNS1_11reduce_implILb1ES3_N6thrust23THRUST_200600_302600_NS11hip_rocprim26transform_input_iterator_tIS6_NSA_6detail15normal_iteratorINSA_10device_ptrIfEEEE22summary_stats_unary_opIfEEEPS6_S6_23summary_stats_binary_opIfEEE10hipError_tPvRmT1_T2_T3_mT4_P12ihipStream_tbEUlT_E1_NS1_11comp_targetILNS1_3genE8ELNS1_11target_archE1030ELNS1_3gpuE2ELNS1_3repE0EEENS1_30default_config_static_selectorELNS0_4arch9wavefront6targetE0EEEvSR_, .Lfunc_end35-_ZN7rocprim17ROCPRIM_400000_NS6detail17trampoline_kernelINS0_14default_configENS1_22reduce_config_selectorI18summary_stats_dataIfEEEZNS1_11reduce_implILb1ES3_N6thrust23THRUST_200600_302600_NS11hip_rocprim26transform_input_iterator_tIS6_NSA_6detail15normal_iteratorINSA_10device_ptrIfEEEE22summary_stats_unary_opIfEEEPS6_S6_23summary_stats_binary_opIfEEE10hipError_tPvRmT1_T2_T3_mT4_P12ihipStream_tbEUlT_E1_NS1_11comp_targetILNS1_3genE8ELNS1_11target_archE1030ELNS1_3gpuE2ELNS1_3repE0EEENS1_30default_config_static_selectorELNS0_4arch9wavefront6targetE0EEEvSR_
                                        ; -- End function
	.set _ZN7rocprim17ROCPRIM_400000_NS6detail17trampoline_kernelINS0_14default_configENS1_22reduce_config_selectorI18summary_stats_dataIfEEEZNS1_11reduce_implILb1ES3_N6thrust23THRUST_200600_302600_NS11hip_rocprim26transform_input_iterator_tIS6_NSA_6detail15normal_iteratorINSA_10device_ptrIfEEEE22summary_stats_unary_opIfEEEPS6_S6_23summary_stats_binary_opIfEEE10hipError_tPvRmT1_T2_T3_mT4_P12ihipStream_tbEUlT_E1_NS1_11comp_targetILNS1_3genE8ELNS1_11target_archE1030ELNS1_3gpuE2ELNS1_3repE0EEENS1_30default_config_static_selectorELNS0_4arch9wavefront6targetE0EEEvSR_.num_vgpr, 62
	.set _ZN7rocprim17ROCPRIM_400000_NS6detail17trampoline_kernelINS0_14default_configENS1_22reduce_config_selectorI18summary_stats_dataIfEEEZNS1_11reduce_implILb1ES3_N6thrust23THRUST_200600_302600_NS11hip_rocprim26transform_input_iterator_tIS6_NSA_6detail15normal_iteratorINSA_10device_ptrIfEEEE22summary_stats_unary_opIfEEEPS6_S6_23summary_stats_binary_opIfEEE10hipError_tPvRmT1_T2_T3_mT4_P12ihipStream_tbEUlT_E1_NS1_11comp_targetILNS1_3genE8ELNS1_11target_archE1030ELNS1_3gpuE2ELNS1_3repE0EEENS1_30default_config_static_selectorELNS0_4arch9wavefront6targetE0EEEvSR_.num_agpr, 0
	.set _ZN7rocprim17ROCPRIM_400000_NS6detail17trampoline_kernelINS0_14default_configENS1_22reduce_config_selectorI18summary_stats_dataIfEEEZNS1_11reduce_implILb1ES3_N6thrust23THRUST_200600_302600_NS11hip_rocprim26transform_input_iterator_tIS6_NSA_6detail15normal_iteratorINSA_10device_ptrIfEEEE22summary_stats_unary_opIfEEEPS6_S6_23summary_stats_binary_opIfEEE10hipError_tPvRmT1_T2_T3_mT4_P12ihipStream_tbEUlT_E1_NS1_11comp_targetILNS1_3genE8ELNS1_11target_archE1030ELNS1_3gpuE2ELNS1_3repE0EEENS1_30default_config_static_selectorELNS0_4arch9wavefront6targetE0EEEvSR_.numbered_sgpr, 28
	.set _ZN7rocprim17ROCPRIM_400000_NS6detail17trampoline_kernelINS0_14default_configENS1_22reduce_config_selectorI18summary_stats_dataIfEEEZNS1_11reduce_implILb1ES3_N6thrust23THRUST_200600_302600_NS11hip_rocprim26transform_input_iterator_tIS6_NSA_6detail15normal_iteratorINSA_10device_ptrIfEEEE22summary_stats_unary_opIfEEEPS6_S6_23summary_stats_binary_opIfEEE10hipError_tPvRmT1_T2_T3_mT4_P12ihipStream_tbEUlT_E1_NS1_11comp_targetILNS1_3genE8ELNS1_11target_archE1030ELNS1_3gpuE2ELNS1_3repE0EEENS1_30default_config_static_selectorELNS0_4arch9wavefront6targetE0EEEvSR_.num_named_barrier, 0
	.set _ZN7rocprim17ROCPRIM_400000_NS6detail17trampoline_kernelINS0_14default_configENS1_22reduce_config_selectorI18summary_stats_dataIfEEEZNS1_11reduce_implILb1ES3_N6thrust23THRUST_200600_302600_NS11hip_rocprim26transform_input_iterator_tIS6_NSA_6detail15normal_iteratorINSA_10device_ptrIfEEEE22summary_stats_unary_opIfEEEPS6_S6_23summary_stats_binary_opIfEEE10hipError_tPvRmT1_T2_T3_mT4_P12ihipStream_tbEUlT_E1_NS1_11comp_targetILNS1_3genE8ELNS1_11target_archE1030ELNS1_3gpuE2ELNS1_3repE0EEENS1_30default_config_static_selectorELNS0_4arch9wavefront6targetE0EEEvSR_.private_seg_size, 0
	.set _ZN7rocprim17ROCPRIM_400000_NS6detail17trampoline_kernelINS0_14default_configENS1_22reduce_config_selectorI18summary_stats_dataIfEEEZNS1_11reduce_implILb1ES3_N6thrust23THRUST_200600_302600_NS11hip_rocprim26transform_input_iterator_tIS6_NSA_6detail15normal_iteratorINSA_10device_ptrIfEEEE22summary_stats_unary_opIfEEEPS6_S6_23summary_stats_binary_opIfEEE10hipError_tPvRmT1_T2_T3_mT4_P12ihipStream_tbEUlT_E1_NS1_11comp_targetILNS1_3genE8ELNS1_11target_archE1030ELNS1_3gpuE2ELNS1_3repE0EEENS1_30default_config_static_selectorELNS0_4arch9wavefront6targetE0EEEvSR_.uses_vcc, 1
	.set _ZN7rocprim17ROCPRIM_400000_NS6detail17trampoline_kernelINS0_14default_configENS1_22reduce_config_selectorI18summary_stats_dataIfEEEZNS1_11reduce_implILb1ES3_N6thrust23THRUST_200600_302600_NS11hip_rocprim26transform_input_iterator_tIS6_NSA_6detail15normal_iteratorINSA_10device_ptrIfEEEE22summary_stats_unary_opIfEEEPS6_S6_23summary_stats_binary_opIfEEE10hipError_tPvRmT1_T2_T3_mT4_P12ihipStream_tbEUlT_E1_NS1_11comp_targetILNS1_3genE8ELNS1_11target_archE1030ELNS1_3gpuE2ELNS1_3repE0EEENS1_30default_config_static_selectorELNS0_4arch9wavefront6targetE0EEEvSR_.uses_flat_scratch, 0
	.set _ZN7rocprim17ROCPRIM_400000_NS6detail17trampoline_kernelINS0_14default_configENS1_22reduce_config_selectorI18summary_stats_dataIfEEEZNS1_11reduce_implILb1ES3_N6thrust23THRUST_200600_302600_NS11hip_rocprim26transform_input_iterator_tIS6_NSA_6detail15normal_iteratorINSA_10device_ptrIfEEEE22summary_stats_unary_opIfEEEPS6_S6_23summary_stats_binary_opIfEEE10hipError_tPvRmT1_T2_T3_mT4_P12ihipStream_tbEUlT_E1_NS1_11comp_targetILNS1_3genE8ELNS1_11target_archE1030ELNS1_3gpuE2ELNS1_3repE0EEENS1_30default_config_static_selectorELNS0_4arch9wavefront6targetE0EEEvSR_.has_dyn_sized_stack, 0
	.set _ZN7rocprim17ROCPRIM_400000_NS6detail17trampoline_kernelINS0_14default_configENS1_22reduce_config_selectorI18summary_stats_dataIfEEEZNS1_11reduce_implILb1ES3_N6thrust23THRUST_200600_302600_NS11hip_rocprim26transform_input_iterator_tIS6_NSA_6detail15normal_iteratorINSA_10device_ptrIfEEEE22summary_stats_unary_opIfEEEPS6_S6_23summary_stats_binary_opIfEEE10hipError_tPvRmT1_T2_T3_mT4_P12ihipStream_tbEUlT_E1_NS1_11comp_targetILNS1_3genE8ELNS1_11target_archE1030ELNS1_3gpuE2ELNS1_3repE0EEENS1_30default_config_static_selectorELNS0_4arch9wavefront6targetE0EEEvSR_.has_recursion, 0
	.set _ZN7rocprim17ROCPRIM_400000_NS6detail17trampoline_kernelINS0_14default_configENS1_22reduce_config_selectorI18summary_stats_dataIfEEEZNS1_11reduce_implILb1ES3_N6thrust23THRUST_200600_302600_NS11hip_rocprim26transform_input_iterator_tIS6_NSA_6detail15normal_iteratorINSA_10device_ptrIfEEEE22summary_stats_unary_opIfEEEPS6_S6_23summary_stats_binary_opIfEEE10hipError_tPvRmT1_T2_T3_mT4_P12ihipStream_tbEUlT_E1_NS1_11comp_targetILNS1_3genE8ELNS1_11target_archE1030ELNS1_3gpuE2ELNS1_3repE0EEENS1_30default_config_static_selectorELNS0_4arch9wavefront6targetE0EEEvSR_.has_indirect_call, 0
	.section	.AMDGPU.csdata,"",@progbits
; Kernel info:
; codeLenInByte = 46980
; TotalNumSgprs: 30
; NumVgprs: 62
; ScratchSize: 0
; MemoryBound: 0
; FloatMode: 240
; IeeeMode: 1
; LDSByteSize: 896 bytes/workgroup (compile time only)
; SGPRBlocks: 0
; VGPRBlocks: 7
; NumSGPRsForWavesPerEU: 30
; NumVGPRsForWavesPerEU: 62
; Occupancy: 16
; WaveLimiterHint : 1
; COMPUTE_PGM_RSRC2:SCRATCH_EN: 0
; COMPUTE_PGM_RSRC2:USER_SGPR: 6
; COMPUTE_PGM_RSRC2:TRAP_HANDLER: 0
; COMPUTE_PGM_RSRC2:TGID_X_EN: 1
; COMPUTE_PGM_RSRC2:TGID_Y_EN: 0
; COMPUTE_PGM_RSRC2:TGID_Z_EN: 0
; COMPUTE_PGM_RSRC2:TIDIG_COMP_CNT: 0
	.section	.text._ZN6thrust23THRUST_200600_302600_NS11hip_rocprim14__parallel_for6kernelILj256ENS1_20__uninitialized_copy7functorINS0_6detail15normal_iteratorINS0_10device_ptrIfEEEENS0_7pointerIfNS1_3tagENS0_11use_defaultESD_EEEEmLj1EEEvT0_T1_SH_,"axG",@progbits,_ZN6thrust23THRUST_200600_302600_NS11hip_rocprim14__parallel_for6kernelILj256ENS1_20__uninitialized_copy7functorINS0_6detail15normal_iteratorINS0_10device_ptrIfEEEENS0_7pointerIfNS1_3tagENS0_11use_defaultESD_EEEEmLj1EEEvT0_T1_SH_,comdat
	.protected	_ZN6thrust23THRUST_200600_302600_NS11hip_rocprim14__parallel_for6kernelILj256ENS1_20__uninitialized_copy7functorINS0_6detail15normal_iteratorINS0_10device_ptrIfEEEENS0_7pointerIfNS1_3tagENS0_11use_defaultESD_EEEEmLj1EEEvT0_T1_SH_ ; -- Begin function _ZN6thrust23THRUST_200600_302600_NS11hip_rocprim14__parallel_for6kernelILj256ENS1_20__uninitialized_copy7functorINS0_6detail15normal_iteratorINS0_10device_ptrIfEEEENS0_7pointerIfNS1_3tagENS0_11use_defaultESD_EEEEmLj1EEEvT0_T1_SH_
	.globl	_ZN6thrust23THRUST_200600_302600_NS11hip_rocprim14__parallel_for6kernelILj256ENS1_20__uninitialized_copy7functorINS0_6detail15normal_iteratorINS0_10device_ptrIfEEEENS0_7pointerIfNS1_3tagENS0_11use_defaultESD_EEEEmLj1EEEvT0_T1_SH_
	.p2align	8
	.type	_ZN6thrust23THRUST_200600_302600_NS11hip_rocprim14__parallel_for6kernelILj256ENS1_20__uninitialized_copy7functorINS0_6detail15normal_iteratorINS0_10device_ptrIfEEEENS0_7pointerIfNS1_3tagENS0_11use_defaultESD_EEEEmLj1EEEvT0_T1_SH_,@function
_ZN6thrust23THRUST_200600_302600_NS11hip_rocprim14__parallel_for6kernelILj256ENS1_20__uninitialized_copy7functorINS0_6detail15normal_iteratorINS0_10device_ptrIfEEEENS0_7pointerIfNS1_3tagENS0_11use_defaultESD_EEEEmLj1EEEvT0_T1_SH_: ; @_ZN6thrust23THRUST_200600_302600_NS11hip_rocprim14__parallel_for6kernelILj256ENS1_20__uninitialized_copy7functorINS0_6detail15normal_iteratorINS0_10device_ptrIfEEEENS0_7pointerIfNS1_3tagENS0_11use_defaultESD_EEEEmLj1EEEvT0_T1_SH_
; %bb.0:
	s_load_dwordx8 s[8:15], s[4:5], 0x0
	s_lshl_b32 s0, s6, 8
	s_waitcnt lgkmcnt(0)
	s_add_u32 s2, s14, s0
	s_addc_u32 s3, s15, 0
	s_sub_u32 s0, s12, s2
	s_subb_u32 s1, s13, s3
	v_cmp_lt_u64_e64 s1, 0xff, s[0:1]
	s_and_b32 vcc_lo, exec_lo, s1
	s_mov_b32 s1, -1
	s_cbranch_vccz .LBB36_3
; %bb.1:
	s_andn2_b32 vcc_lo, exec_lo, s1
	s_cbranch_vccz .LBB36_6
.LBB36_2:
	s_endpgm
.LBB36_3:
	v_cmp_gt_u32_e32 vcc_lo, s0, v0
	s_and_saveexec_b32 s0, vcc_lo
	s_cbranch_execz .LBB36_5
; %bb.4:
	v_add_co_u32 v1, s1, s2, v0
	v_add_co_ci_u32_e64 v2, null, s3, 0, s1
	v_lshlrev_b64 v[1:2], 2, v[1:2]
	v_add_co_u32 v3, vcc_lo, s8, v1
	v_add_co_ci_u32_e64 v4, null, s9, v2, vcc_lo
	v_add_co_u32 v1, vcc_lo, s10, v1
	v_add_co_ci_u32_e64 v2, null, s11, v2, vcc_lo
	flat_load_dword v3, v[3:4]
	s_waitcnt vmcnt(0) lgkmcnt(0)
	flat_store_dword v[1:2], v3
.LBB36_5:
	s_or_b32 exec_lo, exec_lo, s0
	s_cbranch_execnz .LBB36_2
.LBB36_6:
	v_add_co_u32 v0, s0, s2, v0
	v_add_co_ci_u32_e64 v1, null, s3, 0, s0
	v_lshlrev_b64 v[0:1], 2, v[0:1]
	v_add_co_u32 v2, vcc_lo, s8, v0
	v_add_co_ci_u32_e64 v3, null, s9, v1, vcc_lo
	v_add_co_u32 v0, vcc_lo, s10, v0
	v_add_co_ci_u32_e64 v1, null, s11, v1, vcc_lo
	flat_load_dword v2, v[2:3]
	s_waitcnt vmcnt(0) lgkmcnt(0)
	flat_store_dword v[0:1], v2
	s_endpgm
	.section	.rodata,"a",@progbits
	.p2align	6, 0x0
	.amdhsa_kernel _ZN6thrust23THRUST_200600_302600_NS11hip_rocprim14__parallel_for6kernelILj256ENS1_20__uninitialized_copy7functorINS0_6detail15normal_iteratorINS0_10device_ptrIfEEEENS0_7pointerIfNS1_3tagENS0_11use_defaultESD_EEEEmLj1EEEvT0_T1_SH_
		.amdhsa_group_segment_fixed_size 0
		.amdhsa_private_segment_fixed_size 0
		.amdhsa_kernarg_size 32
		.amdhsa_user_sgpr_count 6
		.amdhsa_user_sgpr_private_segment_buffer 1
		.amdhsa_user_sgpr_dispatch_ptr 0
		.amdhsa_user_sgpr_queue_ptr 0
		.amdhsa_user_sgpr_kernarg_segment_ptr 1
		.amdhsa_user_sgpr_dispatch_id 0
		.amdhsa_user_sgpr_flat_scratch_init 0
		.amdhsa_user_sgpr_private_segment_size 0
		.amdhsa_wavefront_size32 1
		.amdhsa_uses_dynamic_stack 0
		.amdhsa_system_sgpr_private_segment_wavefront_offset 0
		.amdhsa_system_sgpr_workgroup_id_x 1
		.amdhsa_system_sgpr_workgroup_id_y 0
		.amdhsa_system_sgpr_workgroup_id_z 0
		.amdhsa_system_sgpr_workgroup_info 0
		.amdhsa_system_vgpr_workitem_id 0
		.amdhsa_next_free_vgpr 5
		.amdhsa_next_free_sgpr 16
		.amdhsa_reserve_vcc 1
		.amdhsa_reserve_flat_scratch 0
		.amdhsa_float_round_mode_32 0
		.amdhsa_float_round_mode_16_64 0
		.amdhsa_float_denorm_mode_32 3
		.amdhsa_float_denorm_mode_16_64 3
		.amdhsa_dx10_clamp 1
		.amdhsa_ieee_mode 1
		.amdhsa_fp16_overflow 0
		.amdhsa_workgroup_processor_mode 1
		.amdhsa_memory_ordered 1
		.amdhsa_forward_progress 1
		.amdhsa_shared_vgpr_count 0
		.amdhsa_exception_fp_ieee_invalid_op 0
		.amdhsa_exception_fp_denorm_src 0
		.amdhsa_exception_fp_ieee_div_zero 0
		.amdhsa_exception_fp_ieee_overflow 0
		.amdhsa_exception_fp_ieee_underflow 0
		.amdhsa_exception_fp_ieee_inexact 0
		.amdhsa_exception_int_div_zero 0
	.end_amdhsa_kernel
	.section	.text._ZN6thrust23THRUST_200600_302600_NS11hip_rocprim14__parallel_for6kernelILj256ENS1_20__uninitialized_copy7functorINS0_6detail15normal_iteratorINS0_10device_ptrIfEEEENS0_7pointerIfNS1_3tagENS0_11use_defaultESD_EEEEmLj1EEEvT0_T1_SH_,"axG",@progbits,_ZN6thrust23THRUST_200600_302600_NS11hip_rocprim14__parallel_for6kernelILj256ENS1_20__uninitialized_copy7functorINS0_6detail15normal_iteratorINS0_10device_ptrIfEEEENS0_7pointerIfNS1_3tagENS0_11use_defaultESD_EEEEmLj1EEEvT0_T1_SH_,comdat
.Lfunc_end36:
	.size	_ZN6thrust23THRUST_200600_302600_NS11hip_rocprim14__parallel_for6kernelILj256ENS1_20__uninitialized_copy7functorINS0_6detail15normal_iteratorINS0_10device_ptrIfEEEENS0_7pointerIfNS1_3tagENS0_11use_defaultESD_EEEEmLj1EEEvT0_T1_SH_, .Lfunc_end36-_ZN6thrust23THRUST_200600_302600_NS11hip_rocprim14__parallel_for6kernelILj256ENS1_20__uninitialized_copy7functorINS0_6detail15normal_iteratorINS0_10device_ptrIfEEEENS0_7pointerIfNS1_3tagENS0_11use_defaultESD_EEEEmLj1EEEvT0_T1_SH_
                                        ; -- End function
	.set _ZN6thrust23THRUST_200600_302600_NS11hip_rocprim14__parallel_for6kernelILj256ENS1_20__uninitialized_copy7functorINS0_6detail15normal_iteratorINS0_10device_ptrIfEEEENS0_7pointerIfNS1_3tagENS0_11use_defaultESD_EEEEmLj1EEEvT0_T1_SH_.num_vgpr, 5
	.set _ZN6thrust23THRUST_200600_302600_NS11hip_rocprim14__parallel_for6kernelILj256ENS1_20__uninitialized_copy7functorINS0_6detail15normal_iteratorINS0_10device_ptrIfEEEENS0_7pointerIfNS1_3tagENS0_11use_defaultESD_EEEEmLj1EEEvT0_T1_SH_.num_agpr, 0
	.set _ZN6thrust23THRUST_200600_302600_NS11hip_rocprim14__parallel_for6kernelILj256ENS1_20__uninitialized_copy7functorINS0_6detail15normal_iteratorINS0_10device_ptrIfEEEENS0_7pointerIfNS1_3tagENS0_11use_defaultESD_EEEEmLj1EEEvT0_T1_SH_.numbered_sgpr, 16
	.set _ZN6thrust23THRUST_200600_302600_NS11hip_rocprim14__parallel_for6kernelILj256ENS1_20__uninitialized_copy7functorINS0_6detail15normal_iteratorINS0_10device_ptrIfEEEENS0_7pointerIfNS1_3tagENS0_11use_defaultESD_EEEEmLj1EEEvT0_T1_SH_.num_named_barrier, 0
	.set _ZN6thrust23THRUST_200600_302600_NS11hip_rocprim14__parallel_for6kernelILj256ENS1_20__uninitialized_copy7functorINS0_6detail15normal_iteratorINS0_10device_ptrIfEEEENS0_7pointerIfNS1_3tagENS0_11use_defaultESD_EEEEmLj1EEEvT0_T1_SH_.private_seg_size, 0
	.set _ZN6thrust23THRUST_200600_302600_NS11hip_rocprim14__parallel_for6kernelILj256ENS1_20__uninitialized_copy7functorINS0_6detail15normal_iteratorINS0_10device_ptrIfEEEENS0_7pointerIfNS1_3tagENS0_11use_defaultESD_EEEEmLj1EEEvT0_T1_SH_.uses_vcc, 1
	.set _ZN6thrust23THRUST_200600_302600_NS11hip_rocprim14__parallel_for6kernelILj256ENS1_20__uninitialized_copy7functorINS0_6detail15normal_iteratorINS0_10device_ptrIfEEEENS0_7pointerIfNS1_3tagENS0_11use_defaultESD_EEEEmLj1EEEvT0_T1_SH_.uses_flat_scratch, 0
	.set _ZN6thrust23THRUST_200600_302600_NS11hip_rocprim14__parallel_for6kernelILj256ENS1_20__uninitialized_copy7functorINS0_6detail15normal_iteratorINS0_10device_ptrIfEEEENS0_7pointerIfNS1_3tagENS0_11use_defaultESD_EEEEmLj1EEEvT0_T1_SH_.has_dyn_sized_stack, 0
	.set _ZN6thrust23THRUST_200600_302600_NS11hip_rocprim14__parallel_for6kernelILj256ENS1_20__uninitialized_copy7functorINS0_6detail15normal_iteratorINS0_10device_ptrIfEEEENS0_7pointerIfNS1_3tagENS0_11use_defaultESD_EEEEmLj1EEEvT0_T1_SH_.has_recursion, 0
	.set _ZN6thrust23THRUST_200600_302600_NS11hip_rocprim14__parallel_for6kernelILj256ENS1_20__uninitialized_copy7functorINS0_6detail15normal_iteratorINS0_10device_ptrIfEEEENS0_7pointerIfNS1_3tagENS0_11use_defaultESD_EEEEmLj1EEEvT0_T1_SH_.has_indirect_call, 0
	.section	.AMDGPU.csdata,"",@progbits
; Kernel info:
; codeLenInByte = 244
; TotalNumSgprs: 18
; NumVgprs: 5
; ScratchSize: 0
; MemoryBound: 0
; FloatMode: 240
; IeeeMode: 1
; LDSByteSize: 0 bytes/workgroup (compile time only)
; SGPRBlocks: 0
; VGPRBlocks: 0
; NumSGPRsForWavesPerEU: 18
; NumVGPRsForWavesPerEU: 5
; Occupancy: 16
; WaveLimiterHint : 0
; COMPUTE_PGM_RSRC2:SCRATCH_EN: 0
; COMPUTE_PGM_RSRC2:USER_SGPR: 6
; COMPUTE_PGM_RSRC2:TRAP_HANDLER: 0
; COMPUTE_PGM_RSRC2:TGID_X_EN: 1
; COMPUTE_PGM_RSRC2:TGID_Y_EN: 0
; COMPUTE_PGM_RSRC2:TGID_Z_EN: 0
; COMPUTE_PGM_RSRC2:TIDIG_COMP_CNT: 0
	.section	.AMDGPU.gpr_maximums,"",@progbits
	.set amdgpu.max_num_vgpr, 0
	.set amdgpu.max_num_agpr, 0
	.set amdgpu.max_num_sgpr, 0
	.section	.AMDGPU.csdata,"",@progbits
	.type	__hip_cuid_3b07ceadf4fb721e,@object ; @__hip_cuid_3b07ceadf4fb721e
	.section	.bss,"aw",@nobits
	.globl	__hip_cuid_3b07ceadf4fb721e
__hip_cuid_3b07ceadf4fb721e:
	.byte	0                               ; 0x0
	.size	__hip_cuid_3b07ceadf4fb721e, 1

	.ident	"AMD clang version 22.0.0git (https://github.com/RadeonOpenCompute/llvm-project roc-7.2.4 26084 f58b06dce1f9c15707c5f808fd002e18c2accf7e)"
	.section	".note.GNU-stack","",@progbits
	.addrsig
	.addrsig_sym __hip_cuid_3b07ceadf4fb721e
	.amdgpu_metadata
---
amdhsa.kernels:
  - .args:
      - .offset:         0
        .size:           80
        .value_kind:     by_value
    .group_segment_fixed_size: 0
    .kernarg_segment_align: 8
    .kernarg_segment_size: 80
    .language:       OpenCL C
    .language_version:
      - 2
      - 0
    .max_flat_workgroup_size: 256
    .name:           _ZN7rocprim17ROCPRIM_400000_NS6detail17trampoline_kernelINS0_14default_configENS1_22reduce_config_selectorI18summary_stats_dataIfEEEZNS1_11reduce_implILb1ES3_PS6_S9_S6_23summary_stats_binary_opIfEEE10hipError_tPvRmT1_T2_T3_mT4_P12ihipStream_tbEUlT_E0_NS1_11comp_targetILNS1_3genE0ELNS1_11target_archE4294967295ELNS1_3gpuE0ELNS1_3repE0EEENS1_30default_config_static_selectorELNS0_4arch9wavefront6targetE0EEEvSF_
    .private_segment_fixed_size: 0
    .sgpr_count:     0
    .sgpr_spill_count: 0
    .symbol:         _ZN7rocprim17ROCPRIM_400000_NS6detail17trampoline_kernelINS0_14default_configENS1_22reduce_config_selectorI18summary_stats_dataIfEEEZNS1_11reduce_implILb1ES3_PS6_S9_S6_23summary_stats_binary_opIfEEE10hipError_tPvRmT1_T2_T3_mT4_P12ihipStream_tbEUlT_E0_NS1_11comp_targetILNS1_3genE0ELNS1_11target_archE4294967295ELNS1_3gpuE0ELNS1_3repE0EEENS1_30default_config_static_selectorELNS0_4arch9wavefront6targetE0EEEvSF_.kd
    .uniform_work_group_size: 1
    .uses_dynamic_stack: false
    .vgpr_count:     0
    .vgpr_spill_count: 0
    .wavefront_size: 32
    .workgroup_processor_mode: 1
  - .args:
      - .offset:         0
        .size:           80
        .value_kind:     by_value
    .group_segment_fixed_size: 0
    .kernarg_segment_align: 8
    .kernarg_segment_size: 80
    .language:       OpenCL C
    .language_version:
      - 2
      - 0
    .max_flat_workgroup_size: 256
    .name:           _ZN7rocprim17ROCPRIM_400000_NS6detail17trampoline_kernelINS0_14default_configENS1_22reduce_config_selectorI18summary_stats_dataIfEEEZNS1_11reduce_implILb1ES3_PS6_S9_S6_23summary_stats_binary_opIfEEE10hipError_tPvRmT1_T2_T3_mT4_P12ihipStream_tbEUlT_E0_NS1_11comp_targetILNS1_3genE5ELNS1_11target_archE942ELNS1_3gpuE9ELNS1_3repE0EEENS1_30default_config_static_selectorELNS0_4arch9wavefront6targetE0EEEvSF_
    .private_segment_fixed_size: 0
    .sgpr_count:     0
    .sgpr_spill_count: 0
    .symbol:         _ZN7rocprim17ROCPRIM_400000_NS6detail17trampoline_kernelINS0_14default_configENS1_22reduce_config_selectorI18summary_stats_dataIfEEEZNS1_11reduce_implILb1ES3_PS6_S9_S6_23summary_stats_binary_opIfEEE10hipError_tPvRmT1_T2_T3_mT4_P12ihipStream_tbEUlT_E0_NS1_11comp_targetILNS1_3genE5ELNS1_11target_archE942ELNS1_3gpuE9ELNS1_3repE0EEENS1_30default_config_static_selectorELNS0_4arch9wavefront6targetE0EEEvSF_.kd
    .uniform_work_group_size: 1
    .uses_dynamic_stack: false
    .vgpr_count:     0
    .vgpr_spill_count: 0
    .wavefront_size: 32
    .workgroup_processor_mode: 1
  - .args:
      - .offset:         0
        .size:           80
        .value_kind:     by_value
    .group_segment_fixed_size: 0
    .kernarg_segment_align: 8
    .kernarg_segment_size: 80
    .language:       OpenCL C
    .language_version:
      - 2
      - 0
    .max_flat_workgroup_size: 256
    .name:           _ZN7rocprim17ROCPRIM_400000_NS6detail17trampoline_kernelINS0_14default_configENS1_22reduce_config_selectorI18summary_stats_dataIfEEEZNS1_11reduce_implILb1ES3_PS6_S9_S6_23summary_stats_binary_opIfEEE10hipError_tPvRmT1_T2_T3_mT4_P12ihipStream_tbEUlT_E0_NS1_11comp_targetILNS1_3genE4ELNS1_11target_archE910ELNS1_3gpuE8ELNS1_3repE0EEENS1_30default_config_static_selectorELNS0_4arch9wavefront6targetE0EEEvSF_
    .private_segment_fixed_size: 0
    .sgpr_count:     0
    .sgpr_spill_count: 0
    .symbol:         _ZN7rocprim17ROCPRIM_400000_NS6detail17trampoline_kernelINS0_14default_configENS1_22reduce_config_selectorI18summary_stats_dataIfEEEZNS1_11reduce_implILb1ES3_PS6_S9_S6_23summary_stats_binary_opIfEEE10hipError_tPvRmT1_T2_T3_mT4_P12ihipStream_tbEUlT_E0_NS1_11comp_targetILNS1_3genE4ELNS1_11target_archE910ELNS1_3gpuE8ELNS1_3repE0EEENS1_30default_config_static_selectorELNS0_4arch9wavefront6targetE0EEEvSF_.kd
    .uniform_work_group_size: 1
    .uses_dynamic_stack: false
    .vgpr_count:     0
    .vgpr_spill_count: 0
    .wavefront_size: 32
    .workgroup_processor_mode: 1
  - .args:
      - .offset:         0
        .size:           80
        .value_kind:     by_value
    .group_segment_fixed_size: 0
    .kernarg_segment_align: 8
    .kernarg_segment_size: 80
    .language:       OpenCL C
    .language_version:
      - 2
      - 0
    .max_flat_workgroup_size: 256
    .name:           _ZN7rocprim17ROCPRIM_400000_NS6detail17trampoline_kernelINS0_14default_configENS1_22reduce_config_selectorI18summary_stats_dataIfEEEZNS1_11reduce_implILb1ES3_PS6_S9_S6_23summary_stats_binary_opIfEEE10hipError_tPvRmT1_T2_T3_mT4_P12ihipStream_tbEUlT_E0_NS1_11comp_targetILNS1_3genE3ELNS1_11target_archE908ELNS1_3gpuE7ELNS1_3repE0EEENS1_30default_config_static_selectorELNS0_4arch9wavefront6targetE0EEEvSF_
    .private_segment_fixed_size: 0
    .sgpr_count:     0
    .sgpr_spill_count: 0
    .symbol:         _ZN7rocprim17ROCPRIM_400000_NS6detail17trampoline_kernelINS0_14default_configENS1_22reduce_config_selectorI18summary_stats_dataIfEEEZNS1_11reduce_implILb1ES3_PS6_S9_S6_23summary_stats_binary_opIfEEE10hipError_tPvRmT1_T2_T3_mT4_P12ihipStream_tbEUlT_E0_NS1_11comp_targetILNS1_3genE3ELNS1_11target_archE908ELNS1_3gpuE7ELNS1_3repE0EEENS1_30default_config_static_selectorELNS0_4arch9wavefront6targetE0EEEvSF_.kd
    .uniform_work_group_size: 1
    .uses_dynamic_stack: false
    .vgpr_count:     0
    .vgpr_spill_count: 0
    .wavefront_size: 32
    .workgroup_processor_mode: 1
  - .args:
      - .offset:         0
        .size:           80
        .value_kind:     by_value
    .group_segment_fixed_size: 0
    .kernarg_segment_align: 8
    .kernarg_segment_size: 80
    .language:       OpenCL C
    .language_version:
      - 2
      - 0
    .max_flat_workgroup_size: 256
    .name:           _ZN7rocprim17ROCPRIM_400000_NS6detail17trampoline_kernelINS0_14default_configENS1_22reduce_config_selectorI18summary_stats_dataIfEEEZNS1_11reduce_implILb1ES3_PS6_S9_S6_23summary_stats_binary_opIfEEE10hipError_tPvRmT1_T2_T3_mT4_P12ihipStream_tbEUlT_E0_NS1_11comp_targetILNS1_3genE2ELNS1_11target_archE906ELNS1_3gpuE6ELNS1_3repE0EEENS1_30default_config_static_selectorELNS0_4arch9wavefront6targetE0EEEvSF_
    .private_segment_fixed_size: 0
    .sgpr_count:     0
    .sgpr_spill_count: 0
    .symbol:         _ZN7rocprim17ROCPRIM_400000_NS6detail17trampoline_kernelINS0_14default_configENS1_22reduce_config_selectorI18summary_stats_dataIfEEEZNS1_11reduce_implILb1ES3_PS6_S9_S6_23summary_stats_binary_opIfEEE10hipError_tPvRmT1_T2_T3_mT4_P12ihipStream_tbEUlT_E0_NS1_11comp_targetILNS1_3genE2ELNS1_11target_archE906ELNS1_3gpuE6ELNS1_3repE0EEENS1_30default_config_static_selectorELNS0_4arch9wavefront6targetE0EEEvSF_.kd
    .uniform_work_group_size: 1
    .uses_dynamic_stack: false
    .vgpr_count:     0
    .vgpr_spill_count: 0
    .wavefront_size: 32
    .workgroup_processor_mode: 1
  - .args:
      - .offset:         0
        .size:           80
        .value_kind:     by_value
    .group_segment_fixed_size: 0
    .kernarg_segment_align: 8
    .kernarg_segment_size: 80
    .language:       OpenCL C
    .language_version:
      - 2
      - 0
    .max_flat_workgroup_size: 256
    .name:           _ZN7rocprim17ROCPRIM_400000_NS6detail17trampoline_kernelINS0_14default_configENS1_22reduce_config_selectorI18summary_stats_dataIfEEEZNS1_11reduce_implILb1ES3_PS6_S9_S6_23summary_stats_binary_opIfEEE10hipError_tPvRmT1_T2_T3_mT4_P12ihipStream_tbEUlT_E0_NS1_11comp_targetILNS1_3genE10ELNS1_11target_archE1201ELNS1_3gpuE5ELNS1_3repE0EEENS1_30default_config_static_selectorELNS0_4arch9wavefront6targetE0EEEvSF_
    .private_segment_fixed_size: 0
    .sgpr_count:     0
    .sgpr_spill_count: 0
    .symbol:         _ZN7rocprim17ROCPRIM_400000_NS6detail17trampoline_kernelINS0_14default_configENS1_22reduce_config_selectorI18summary_stats_dataIfEEEZNS1_11reduce_implILb1ES3_PS6_S9_S6_23summary_stats_binary_opIfEEE10hipError_tPvRmT1_T2_T3_mT4_P12ihipStream_tbEUlT_E0_NS1_11comp_targetILNS1_3genE10ELNS1_11target_archE1201ELNS1_3gpuE5ELNS1_3repE0EEENS1_30default_config_static_selectorELNS0_4arch9wavefront6targetE0EEEvSF_.kd
    .uniform_work_group_size: 1
    .uses_dynamic_stack: false
    .vgpr_count:     0
    .vgpr_spill_count: 0
    .wavefront_size: 32
    .workgroup_processor_mode: 1
  - .args:
      - .offset:         0
        .size:           80
        .value_kind:     by_value
    .group_segment_fixed_size: 0
    .kernarg_segment_align: 8
    .kernarg_segment_size: 80
    .language:       OpenCL C
    .language_version:
      - 2
      - 0
    .max_flat_workgroup_size: 256
    .name:           _ZN7rocprim17ROCPRIM_400000_NS6detail17trampoline_kernelINS0_14default_configENS1_22reduce_config_selectorI18summary_stats_dataIfEEEZNS1_11reduce_implILb1ES3_PS6_S9_S6_23summary_stats_binary_opIfEEE10hipError_tPvRmT1_T2_T3_mT4_P12ihipStream_tbEUlT_E0_NS1_11comp_targetILNS1_3genE10ELNS1_11target_archE1200ELNS1_3gpuE4ELNS1_3repE0EEENS1_30default_config_static_selectorELNS0_4arch9wavefront6targetE0EEEvSF_
    .private_segment_fixed_size: 0
    .sgpr_count:     0
    .sgpr_spill_count: 0
    .symbol:         _ZN7rocprim17ROCPRIM_400000_NS6detail17trampoline_kernelINS0_14default_configENS1_22reduce_config_selectorI18summary_stats_dataIfEEEZNS1_11reduce_implILb1ES3_PS6_S9_S6_23summary_stats_binary_opIfEEE10hipError_tPvRmT1_T2_T3_mT4_P12ihipStream_tbEUlT_E0_NS1_11comp_targetILNS1_3genE10ELNS1_11target_archE1200ELNS1_3gpuE4ELNS1_3repE0EEENS1_30default_config_static_selectorELNS0_4arch9wavefront6targetE0EEEvSF_.kd
    .uniform_work_group_size: 1
    .uses_dynamic_stack: false
    .vgpr_count:     0
    .vgpr_spill_count: 0
    .wavefront_size: 32
    .workgroup_processor_mode: 1
  - .args:
      - .offset:         0
        .size:           80
        .value_kind:     by_value
    .group_segment_fixed_size: 0
    .kernarg_segment_align: 8
    .kernarg_segment_size: 80
    .language:       OpenCL C
    .language_version:
      - 2
      - 0
    .max_flat_workgroup_size: 256
    .name:           _ZN7rocprim17ROCPRIM_400000_NS6detail17trampoline_kernelINS0_14default_configENS1_22reduce_config_selectorI18summary_stats_dataIfEEEZNS1_11reduce_implILb1ES3_PS6_S9_S6_23summary_stats_binary_opIfEEE10hipError_tPvRmT1_T2_T3_mT4_P12ihipStream_tbEUlT_E0_NS1_11comp_targetILNS1_3genE9ELNS1_11target_archE1100ELNS1_3gpuE3ELNS1_3repE0EEENS1_30default_config_static_selectorELNS0_4arch9wavefront6targetE0EEEvSF_
    .private_segment_fixed_size: 0
    .sgpr_count:     0
    .sgpr_spill_count: 0
    .symbol:         _ZN7rocprim17ROCPRIM_400000_NS6detail17trampoline_kernelINS0_14default_configENS1_22reduce_config_selectorI18summary_stats_dataIfEEEZNS1_11reduce_implILb1ES3_PS6_S9_S6_23summary_stats_binary_opIfEEE10hipError_tPvRmT1_T2_T3_mT4_P12ihipStream_tbEUlT_E0_NS1_11comp_targetILNS1_3genE9ELNS1_11target_archE1100ELNS1_3gpuE3ELNS1_3repE0EEENS1_30default_config_static_selectorELNS0_4arch9wavefront6targetE0EEEvSF_.kd
    .uniform_work_group_size: 1
    .uses_dynamic_stack: false
    .vgpr_count:     0
    .vgpr_spill_count: 0
    .wavefront_size: 32
    .workgroup_processor_mode: 1
  - .args:
      - .offset:         0
        .size:           80
        .value_kind:     by_value
    .group_segment_fixed_size: 448
    .kernarg_segment_align: 8
    .kernarg_segment_size: 80
    .language:       OpenCL C
    .language_version:
      - 2
      - 0
    .max_flat_workgroup_size: 256
    .name:           _ZN7rocprim17ROCPRIM_400000_NS6detail17trampoline_kernelINS0_14default_configENS1_22reduce_config_selectorI18summary_stats_dataIfEEEZNS1_11reduce_implILb1ES3_PS6_S9_S6_23summary_stats_binary_opIfEEE10hipError_tPvRmT1_T2_T3_mT4_P12ihipStream_tbEUlT_E0_NS1_11comp_targetILNS1_3genE8ELNS1_11target_archE1030ELNS1_3gpuE2ELNS1_3repE0EEENS1_30default_config_static_selectorELNS0_4arch9wavefront6targetE0EEEvSF_
    .private_segment_fixed_size: 0
    .sgpr_count:     30
    .sgpr_spill_count: 0
    .symbol:         _ZN7rocprim17ROCPRIM_400000_NS6detail17trampoline_kernelINS0_14default_configENS1_22reduce_config_selectorI18summary_stats_dataIfEEEZNS1_11reduce_implILb1ES3_PS6_S9_S6_23summary_stats_binary_opIfEEE10hipError_tPvRmT1_T2_T3_mT4_P12ihipStream_tbEUlT_E0_NS1_11comp_targetILNS1_3genE8ELNS1_11target_archE1030ELNS1_3gpuE2ELNS1_3repE0EEENS1_30default_config_static_selectorELNS0_4arch9wavefront6targetE0EEEvSF_.kd
    .uniform_work_group_size: 1
    .uses_dynamic_stack: false
    .vgpr_count:     61
    .vgpr_spill_count: 0
    .wavefront_size: 32
    .workgroup_processor_mode: 1
  - .args:
      - .offset:         0
        .size:           64
        .value_kind:     by_value
    .group_segment_fixed_size: 0
    .kernarg_segment_align: 8
    .kernarg_segment_size: 64
    .language:       OpenCL C
    .language_version:
      - 2
      - 0
    .max_flat_workgroup_size: 256
    .name:           _ZN7rocprim17ROCPRIM_400000_NS6detail17trampoline_kernelINS0_14default_configENS1_22reduce_config_selectorI18summary_stats_dataIfEEEZNS1_11reduce_implILb1ES3_PS6_S9_S6_23summary_stats_binary_opIfEEE10hipError_tPvRmT1_T2_T3_mT4_P12ihipStream_tbEUlT_E1_NS1_11comp_targetILNS1_3genE0ELNS1_11target_archE4294967295ELNS1_3gpuE0ELNS1_3repE0EEENS1_30default_config_static_selectorELNS0_4arch9wavefront6targetE0EEEvSF_
    .private_segment_fixed_size: 0
    .sgpr_count:     0
    .sgpr_spill_count: 0
    .symbol:         _ZN7rocprim17ROCPRIM_400000_NS6detail17trampoline_kernelINS0_14default_configENS1_22reduce_config_selectorI18summary_stats_dataIfEEEZNS1_11reduce_implILb1ES3_PS6_S9_S6_23summary_stats_binary_opIfEEE10hipError_tPvRmT1_T2_T3_mT4_P12ihipStream_tbEUlT_E1_NS1_11comp_targetILNS1_3genE0ELNS1_11target_archE4294967295ELNS1_3gpuE0ELNS1_3repE0EEENS1_30default_config_static_selectorELNS0_4arch9wavefront6targetE0EEEvSF_.kd
    .uniform_work_group_size: 1
    .uses_dynamic_stack: false
    .vgpr_count:     0
    .vgpr_spill_count: 0
    .wavefront_size: 32
    .workgroup_processor_mode: 1
  - .args:
      - .offset:         0
        .size:           64
        .value_kind:     by_value
    .group_segment_fixed_size: 0
    .kernarg_segment_align: 8
    .kernarg_segment_size: 64
    .language:       OpenCL C
    .language_version:
      - 2
      - 0
    .max_flat_workgroup_size: 256
    .name:           _ZN7rocprim17ROCPRIM_400000_NS6detail17trampoline_kernelINS0_14default_configENS1_22reduce_config_selectorI18summary_stats_dataIfEEEZNS1_11reduce_implILb1ES3_PS6_S9_S6_23summary_stats_binary_opIfEEE10hipError_tPvRmT1_T2_T3_mT4_P12ihipStream_tbEUlT_E1_NS1_11comp_targetILNS1_3genE5ELNS1_11target_archE942ELNS1_3gpuE9ELNS1_3repE0EEENS1_30default_config_static_selectorELNS0_4arch9wavefront6targetE0EEEvSF_
    .private_segment_fixed_size: 0
    .sgpr_count:     0
    .sgpr_spill_count: 0
    .symbol:         _ZN7rocprim17ROCPRIM_400000_NS6detail17trampoline_kernelINS0_14default_configENS1_22reduce_config_selectorI18summary_stats_dataIfEEEZNS1_11reduce_implILb1ES3_PS6_S9_S6_23summary_stats_binary_opIfEEE10hipError_tPvRmT1_T2_T3_mT4_P12ihipStream_tbEUlT_E1_NS1_11comp_targetILNS1_3genE5ELNS1_11target_archE942ELNS1_3gpuE9ELNS1_3repE0EEENS1_30default_config_static_selectorELNS0_4arch9wavefront6targetE0EEEvSF_.kd
    .uniform_work_group_size: 1
    .uses_dynamic_stack: false
    .vgpr_count:     0
    .vgpr_spill_count: 0
    .wavefront_size: 32
    .workgroup_processor_mode: 1
  - .args:
      - .offset:         0
        .size:           64
        .value_kind:     by_value
    .group_segment_fixed_size: 0
    .kernarg_segment_align: 8
    .kernarg_segment_size: 64
    .language:       OpenCL C
    .language_version:
      - 2
      - 0
    .max_flat_workgroup_size: 256
    .name:           _ZN7rocprim17ROCPRIM_400000_NS6detail17trampoline_kernelINS0_14default_configENS1_22reduce_config_selectorI18summary_stats_dataIfEEEZNS1_11reduce_implILb1ES3_PS6_S9_S6_23summary_stats_binary_opIfEEE10hipError_tPvRmT1_T2_T3_mT4_P12ihipStream_tbEUlT_E1_NS1_11comp_targetILNS1_3genE4ELNS1_11target_archE910ELNS1_3gpuE8ELNS1_3repE0EEENS1_30default_config_static_selectorELNS0_4arch9wavefront6targetE0EEEvSF_
    .private_segment_fixed_size: 0
    .sgpr_count:     0
    .sgpr_spill_count: 0
    .symbol:         _ZN7rocprim17ROCPRIM_400000_NS6detail17trampoline_kernelINS0_14default_configENS1_22reduce_config_selectorI18summary_stats_dataIfEEEZNS1_11reduce_implILb1ES3_PS6_S9_S6_23summary_stats_binary_opIfEEE10hipError_tPvRmT1_T2_T3_mT4_P12ihipStream_tbEUlT_E1_NS1_11comp_targetILNS1_3genE4ELNS1_11target_archE910ELNS1_3gpuE8ELNS1_3repE0EEENS1_30default_config_static_selectorELNS0_4arch9wavefront6targetE0EEEvSF_.kd
    .uniform_work_group_size: 1
    .uses_dynamic_stack: false
    .vgpr_count:     0
    .vgpr_spill_count: 0
    .wavefront_size: 32
    .workgroup_processor_mode: 1
  - .args:
      - .offset:         0
        .size:           64
        .value_kind:     by_value
    .group_segment_fixed_size: 0
    .kernarg_segment_align: 8
    .kernarg_segment_size: 64
    .language:       OpenCL C
    .language_version:
      - 2
      - 0
    .max_flat_workgroup_size: 256
    .name:           _ZN7rocprim17ROCPRIM_400000_NS6detail17trampoline_kernelINS0_14default_configENS1_22reduce_config_selectorI18summary_stats_dataIfEEEZNS1_11reduce_implILb1ES3_PS6_S9_S6_23summary_stats_binary_opIfEEE10hipError_tPvRmT1_T2_T3_mT4_P12ihipStream_tbEUlT_E1_NS1_11comp_targetILNS1_3genE3ELNS1_11target_archE908ELNS1_3gpuE7ELNS1_3repE0EEENS1_30default_config_static_selectorELNS0_4arch9wavefront6targetE0EEEvSF_
    .private_segment_fixed_size: 0
    .sgpr_count:     0
    .sgpr_spill_count: 0
    .symbol:         _ZN7rocprim17ROCPRIM_400000_NS6detail17trampoline_kernelINS0_14default_configENS1_22reduce_config_selectorI18summary_stats_dataIfEEEZNS1_11reduce_implILb1ES3_PS6_S9_S6_23summary_stats_binary_opIfEEE10hipError_tPvRmT1_T2_T3_mT4_P12ihipStream_tbEUlT_E1_NS1_11comp_targetILNS1_3genE3ELNS1_11target_archE908ELNS1_3gpuE7ELNS1_3repE0EEENS1_30default_config_static_selectorELNS0_4arch9wavefront6targetE0EEEvSF_.kd
    .uniform_work_group_size: 1
    .uses_dynamic_stack: false
    .vgpr_count:     0
    .vgpr_spill_count: 0
    .wavefront_size: 32
    .workgroup_processor_mode: 1
  - .args:
      - .offset:         0
        .size:           64
        .value_kind:     by_value
    .group_segment_fixed_size: 0
    .kernarg_segment_align: 8
    .kernarg_segment_size: 64
    .language:       OpenCL C
    .language_version:
      - 2
      - 0
    .max_flat_workgroup_size: 256
    .name:           _ZN7rocprim17ROCPRIM_400000_NS6detail17trampoline_kernelINS0_14default_configENS1_22reduce_config_selectorI18summary_stats_dataIfEEEZNS1_11reduce_implILb1ES3_PS6_S9_S6_23summary_stats_binary_opIfEEE10hipError_tPvRmT1_T2_T3_mT4_P12ihipStream_tbEUlT_E1_NS1_11comp_targetILNS1_3genE2ELNS1_11target_archE906ELNS1_3gpuE6ELNS1_3repE0EEENS1_30default_config_static_selectorELNS0_4arch9wavefront6targetE0EEEvSF_
    .private_segment_fixed_size: 0
    .sgpr_count:     0
    .sgpr_spill_count: 0
    .symbol:         _ZN7rocprim17ROCPRIM_400000_NS6detail17trampoline_kernelINS0_14default_configENS1_22reduce_config_selectorI18summary_stats_dataIfEEEZNS1_11reduce_implILb1ES3_PS6_S9_S6_23summary_stats_binary_opIfEEE10hipError_tPvRmT1_T2_T3_mT4_P12ihipStream_tbEUlT_E1_NS1_11comp_targetILNS1_3genE2ELNS1_11target_archE906ELNS1_3gpuE6ELNS1_3repE0EEENS1_30default_config_static_selectorELNS0_4arch9wavefront6targetE0EEEvSF_.kd
    .uniform_work_group_size: 1
    .uses_dynamic_stack: false
    .vgpr_count:     0
    .vgpr_spill_count: 0
    .wavefront_size: 32
    .workgroup_processor_mode: 1
  - .args:
      - .offset:         0
        .size:           64
        .value_kind:     by_value
    .group_segment_fixed_size: 0
    .kernarg_segment_align: 8
    .kernarg_segment_size: 64
    .language:       OpenCL C
    .language_version:
      - 2
      - 0
    .max_flat_workgroup_size: 256
    .name:           _ZN7rocprim17ROCPRIM_400000_NS6detail17trampoline_kernelINS0_14default_configENS1_22reduce_config_selectorI18summary_stats_dataIfEEEZNS1_11reduce_implILb1ES3_PS6_S9_S6_23summary_stats_binary_opIfEEE10hipError_tPvRmT1_T2_T3_mT4_P12ihipStream_tbEUlT_E1_NS1_11comp_targetILNS1_3genE10ELNS1_11target_archE1201ELNS1_3gpuE5ELNS1_3repE0EEENS1_30default_config_static_selectorELNS0_4arch9wavefront6targetE0EEEvSF_
    .private_segment_fixed_size: 0
    .sgpr_count:     0
    .sgpr_spill_count: 0
    .symbol:         _ZN7rocprim17ROCPRIM_400000_NS6detail17trampoline_kernelINS0_14default_configENS1_22reduce_config_selectorI18summary_stats_dataIfEEEZNS1_11reduce_implILb1ES3_PS6_S9_S6_23summary_stats_binary_opIfEEE10hipError_tPvRmT1_T2_T3_mT4_P12ihipStream_tbEUlT_E1_NS1_11comp_targetILNS1_3genE10ELNS1_11target_archE1201ELNS1_3gpuE5ELNS1_3repE0EEENS1_30default_config_static_selectorELNS0_4arch9wavefront6targetE0EEEvSF_.kd
    .uniform_work_group_size: 1
    .uses_dynamic_stack: false
    .vgpr_count:     0
    .vgpr_spill_count: 0
    .wavefront_size: 32
    .workgroup_processor_mode: 1
  - .args:
      - .offset:         0
        .size:           64
        .value_kind:     by_value
    .group_segment_fixed_size: 0
    .kernarg_segment_align: 8
    .kernarg_segment_size: 64
    .language:       OpenCL C
    .language_version:
      - 2
      - 0
    .max_flat_workgroup_size: 256
    .name:           _ZN7rocprim17ROCPRIM_400000_NS6detail17trampoline_kernelINS0_14default_configENS1_22reduce_config_selectorI18summary_stats_dataIfEEEZNS1_11reduce_implILb1ES3_PS6_S9_S6_23summary_stats_binary_opIfEEE10hipError_tPvRmT1_T2_T3_mT4_P12ihipStream_tbEUlT_E1_NS1_11comp_targetILNS1_3genE10ELNS1_11target_archE1200ELNS1_3gpuE4ELNS1_3repE0EEENS1_30default_config_static_selectorELNS0_4arch9wavefront6targetE0EEEvSF_
    .private_segment_fixed_size: 0
    .sgpr_count:     0
    .sgpr_spill_count: 0
    .symbol:         _ZN7rocprim17ROCPRIM_400000_NS6detail17trampoline_kernelINS0_14default_configENS1_22reduce_config_selectorI18summary_stats_dataIfEEEZNS1_11reduce_implILb1ES3_PS6_S9_S6_23summary_stats_binary_opIfEEE10hipError_tPvRmT1_T2_T3_mT4_P12ihipStream_tbEUlT_E1_NS1_11comp_targetILNS1_3genE10ELNS1_11target_archE1200ELNS1_3gpuE4ELNS1_3repE0EEENS1_30default_config_static_selectorELNS0_4arch9wavefront6targetE0EEEvSF_.kd
    .uniform_work_group_size: 1
    .uses_dynamic_stack: false
    .vgpr_count:     0
    .vgpr_spill_count: 0
    .wavefront_size: 32
    .workgroup_processor_mode: 1
  - .args:
      - .offset:         0
        .size:           64
        .value_kind:     by_value
    .group_segment_fixed_size: 0
    .kernarg_segment_align: 8
    .kernarg_segment_size: 64
    .language:       OpenCL C
    .language_version:
      - 2
      - 0
    .max_flat_workgroup_size: 256
    .name:           _ZN7rocprim17ROCPRIM_400000_NS6detail17trampoline_kernelINS0_14default_configENS1_22reduce_config_selectorI18summary_stats_dataIfEEEZNS1_11reduce_implILb1ES3_PS6_S9_S6_23summary_stats_binary_opIfEEE10hipError_tPvRmT1_T2_T3_mT4_P12ihipStream_tbEUlT_E1_NS1_11comp_targetILNS1_3genE9ELNS1_11target_archE1100ELNS1_3gpuE3ELNS1_3repE0EEENS1_30default_config_static_selectorELNS0_4arch9wavefront6targetE0EEEvSF_
    .private_segment_fixed_size: 0
    .sgpr_count:     0
    .sgpr_spill_count: 0
    .symbol:         _ZN7rocprim17ROCPRIM_400000_NS6detail17trampoline_kernelINS0_14default_configENS1_22reduce_config_selectorI18summary_stats_dataIfEEEZNS1_11reduce_implILb1ES3_PS6_S9_S6_23summary_stats_binary_opIfEEE10hipError_tPvRmT1_T2_T3_mT4_P12ihipStream_tbEUlT_E1_NS1_11comp_targetILNS1_3genE9ELNS1_11target_archE1100ELNS1_3gpuE3ELNS1_3repE0EEENS1_30default_config_static_selectorELNS0_4arch9wavefront6targetE0EEEvSF_.kd
    .uniform_work_group_size: 1
    .uses_dynamic_stack: false
    .vgpr_count:     0
    .vgpr_spill_count: 0
    .wavefront_size: 32
    .workgroup_processor_mode: 1
  - .args:
      - .offset:         0
        .size:           64
        .value_kind:     by_value
    .group_segment_fixed_size: 896
    .kernarg_segment_align: 8
    .kernarg_segment_size: 64
    .language:       OpenCL C
    .language_version:
      - 2
      - 0
    .max_flat_workgroup_size: 256
    .name:           _ZN7rocprim17ROCPRIM_400000_NS6detail17trampoline_kernelINS0_14default_configENS1_22reduce_config_selectorI18summary_stats_dataIfEEEZNS1_11reduce_implILb1ES3_PS6_S9_S6_23summary_stats_binary_opIfEEE10hipError_tPvRmT1_T2_T3_mT4_P12ihipStream_tbEUlT_E1_NS1_11comp_targetILNS1_3genE8ELNS1_11target_archE1030ELNS1_3gpuE2ELNS1_3repE0EEENS1_30default_config_static_selectorELNS0_4arch9wavefront6targetE0EEEvSF_
    .private_segment_fixed_size: 0
    .sgpr_count:     29
    .sgpr_spill_count: 0
    .symbol:         _ZN7rocprim17ROCPRIM_400000_NS6detail17trampoline_kernelINS0_14default_configENS1_22reduce_config_selectorI18summary_stats_dataIfEEEZNS1_11reduce_implILb1ES3_PS6_S9_S6_23summary_stats_binary_opIfEEE10hipError_tPvRmT1_T2_T3_mT4_P12ihipStream_tbEUlT_E1_NS1_11comp_targetILNS1_3genE8ELNS1_11target_archE1030ELNS1_3gpuE2ELNS1_3repE0EEENS1_30default_config_static_selectorELNS0_4arch9wavefront6targetE0EEEvSF_.kd
    .uniform_work_group_size: 1
    .uses_dynamic_stack: false
    .vgpr_count:     62
    .vgpr_spill_count: 0
    .wavefront_size: 32
    .workgroup_processor_mode: 1
  - .args:
      - .offset:         0
        .size:           88
        .value_kind:     by_value
    .group_segment_fixed_size: 0
    .kernarg_segment_align: 8
    .kernarg_segment_size: 88
    .language:       OpenCL C
    .language_version:
      - 2
      - 0
    .max_flat_workgroup_size: 256
    .name:           _ZN7rocprim17ROCPRIM_400000_NS6detail17trampoline_kernelINS0_14default_configENS1_22reduce_config_selectorI18summary_stats_dataIfEEEZNS1_11reduce_implILb1ES3_N6thrust23THRUST_200600_302600_NS11hip_rocprim26transform_input_iterator_tIS6_NSA_6detail15normal_iteratorINSA_10device_ptrIfEEEE22summary_stats_unary_opIfEEEPS6_S6_23summary_stats_binary_opIfEEE10hipError_tPvRmT1_T2_T3_mT4_P12ihipStream_tbEUlT_E0_NS1_11comp_targetILNS1_3genE0ELNS1_11target_archE4294967295ELNS1_3gpuE0ELNS1_3repE0EEENS1_30default_config_static_selectorELNS0_4arch9wavefront6targetE0EEEvSR_
    .private_segment_fixed_size: 0
    .sgpr_count:     0
    .sgpr_spill_count: 0
    .symbol:         _ZN7rocprim17ROCPRIM_400000_NS6detail17trampoline_kernelINS0_14default_configENS1_22reduce_config_selectorI18summary_stats_dataIfEEEZNS1_11reduce_implILb1ES3_N6thrust23THRUST_200600_302600_NS11hip_rocprim26transform_input_iterator_tIS6_NSA_6detail15normal_iteratorINSA_10device_ptrIfEEEE22summary_stats_unary_opIfEEEPS6_S6_23summary_stats_binary_opIfEEE10hipError_tPvRmT1_T2_T3_mT4_P12ihipStream_tbEUlT_E0_NS1_11comp_targetILNS1_3genE0ELNS1_11target_archE4294967295ELNS1_3gpuE0ELNS1_3repE0EEENS1_30default_config_static_selectorELNS0_4arch9wavefront6targetE0EEEvSR_.kd
    .uniform_work_group_size: 1
    .uses_dynamic_stack: false
    .vgpr_count:     0
    .vgpr_spill_count: 0
    .wavefront_size: 32
    .workgroup_processor_mode: 1
  - .args:
      - .offset:         0
        .size:           88
        .value_kind:     by_value
    .group_segment_fixed_size: 0
    .kernarg_segment_align: 8
    .kernarg_segment_size: 88
    .language:       OpenCL C
    .language_version:
      - 2
      - 0
    .max_flat_workgroup_size: 256
    .name:           _ZN7rocprim17ROCPRIM_400000_NS6detail17trampoline_kernelINS0_14default_configENS1_22reduce_config_selectorI18summary_stats_dataIfEEEZNS1_11reduce_implILb1ES3_N6thrust23THRUST_200600_302600_NS11hip_rocprim26transform_input_iterator_tIS6_NSA_6detail15normal_iteratorINSA_10device_ptrIfEEEE22summary_stats_unary_opIfEEEPS6_S6_23summary_stats_binary_opIfEEE10hipError_tPvRmT1_T2_T3_mT4_P12ihipStream_tbEUlT_E0_NS1_11comp_targetILNS1_3genE5ELNS1_11target_archE942ELNS1_3gpuE9ELNS1_3repE0EEENS1_30default_config_static_selectorELNS0_4arch9wavefront6targetE0EEEvSR_
    .private_segment_fixed_size: 0
    .sgpr_count:     0
    .sgpr_spill_count: 0
    .symbol:         _ZN7rocprim17ROCPRIM_400000_NS6detail17trampoline_kernelINS0_14default_configENS1_22reduce_config_selectorI18summary_stats_dataIfEEEZNS1_11reduce_implILb1ES3_N6thrust23THRUST_200600_302600_NS11hip_rocprim26transform_input_iterator_tIS6_NSA_6detail15normal_iteratorINSA_10device_ptrIfEEEE22summary_stats_unary_opIfEEEPS6_S6_23summary_stats_binary_opIfEEE10hipError_tPvRmT1_T2_T3_mT4_P12ihipStream_tbEUlT_E0_NS1_11comp_targetILNS1_3genE5ELNS1_11target_archE942ELNS1_3gpuE9ELNS1_3repE0EEENS1_30default_config_static_selectorELNS0_4arch9wavefront6targetE0EEEvSR_.kd
    .uniform_work_group_size: 1
    .uses_dynamic_stack: false
    .vgpr_count:     0
    .vgpr_spill_count: 0
    .wavefront_size: 32
    .workgroup_processor_mode: 1
  - .args:
      - .offset:         0
        .size:           88
        .value_kind:     by_value
    .group_segment_fixed_size: 0
    .kernarg_segment_align: 8
    .kernarg_segment_size: 88
    .language:       OpenCL C
    .language_version:
      - 2
      - 0
    .max_flat_workgroup_size: 256
    .name:           _ZN7rocprim17ROCPRIM_400000_NS6detail17trampoline_kernelINS0_14default_configENS1_22reduce_config_selectorI18summary_stats_dataIfEEEZNS1_11reduce_implILb1ES3_N6thrust23THRUST_200600_302600_NS11hip_rocprim26transform_input_iterator_tIS6_NSA_6detail15normal_iteratorINSA_10device_ptrIfEEEE22summary_stats_unary_opIfEEEPS6_S6_23summary_stats_binary_opIfEEE10hipError_tPvRmT1_T2_T3_mT4_P12ihipStream_tbEUlT_E0_NS1_11comp_targetILNS1_3genE4ELNS1_11target_archE910ELNS1_3gpuE8ELNS1_3repE0EEENS1_30default_config_static_selectorELNS0_4arch9wavefront6targetE0EEEvSR_
    .private_segment_fixed_size: 0
    .sgpr_count:     0
    .sgpr_spill_count: 0
    .symbol:         _ZN7rocprim17ROCPRIM_400000_NS6detail17trampoline_kernelINS0_14default_configENS1_22reduce_config_selectorI18summary_stats_dataIfEEEZNS1_11reduce_implILb1ES3_N6thrust23THRUST_200600_302600_NS11hip_rocprim26transform_input_iterator_tIS6_NSA_6detail15normal_iteratorINSA_10device_ptrIfEEEE22summary_stats_unary_opIfEEEPS6_S6_23summary_stats_binary_opIfEEE10hipError_tPvRmT1_T2_T3_mT4_P12ihipStream_tbEUlT_E0_NS1_11comp_targetILNS1_3genE4ELNS1_11target_archE910ELNS1_3gpuE8ELNS1_3repE0EEENS1_30default_config_static_selectorELNS0_4arch9wavefront6targetE0EEEvSR_.kd
    .uniform_work_group_size: 1
    .uses_dynamic_stack: false
    .vgpr_count:     0
    .vgpr_spill_count: 0
    .wavefront_size: 32
    .workgroup_processor_mode: 1
  - .args:
      - .offset:         0
        .size:           88
        .value_kind:     by_value
    .group_segment_fixed_size: 0
    .kernarg_segment_align: 8
    .kernarg_segment_size: 88
    .language:       OpenCL C
    .language_version:
      - 2
      - 0
    .max_flat_workgroup_size: 256
    .name:           _ZN7rocprim17ROCPRIM_400000_NS6detail17trampoline_kernelINS0_14default_configENS1_22reduce_config_selectorI18summary_stats_dataIfEEEZNS1_11reduce_implILb1ES3_N6thrust23THRUST_200600_302600_NS11hip_rocprim26transform_input_iterator_tIS6_NSA_6detail15normal_iteratorINSA_10device_ptrIfEEEE22summary_stats_unary_opIfEEEPS6_S6_23summary_stats_binary_opIfEEE10hipError_tPvRmT1_T2_T3_mT4_P12ihipStream_tbEUlT_E0_NS1_11comp_targetILNS1_3genE3ELNS1_11target_archE908ELNS1_3gpuE7ELNS1_3repE0EEENS1_30default_config_static_selectorELNS0_4arch9wavefront6targetE0EEEvSR_
    .private_segment_fixed_size: 0
    .sgpr_count:     0
    .sgpr_spill_count: 0
    .symbol:         _ZN7rocprim17ROCPRIM_400000_NS6detail17trampoline_kernelINS0_14default_configENS1_22reduce_config_selectorI18summary_stats_dataIfEEEZNS1_11reduce_implILb1ES3_N6thrust23THRUST_200600_302600_NS11hip_rocprim26transform_input_iterator_tIS6_NSA_6detail15normal_iteratorINSA_10device_ptrIfEEEE22summary_stats_unary_opIfEEEPS6_S6_23summary_stats_binary_opIfEEE10hipError_tPvRmT1_T2_T3_mT4_P12ihipStream_tbEUlT_E0_NS1_11comp_targetILNS1_3genE3ELNS1_11target_archE908ELNS1_3gpuE7ELNS1_3repE0EEENS1_30default_config_static_selectorELNS0_4arch9wavefront6targetE0EEEvSR_.kd
    .uniform_work_group_size: 1
    .uses_dynamic_stack: false
    .vgpr_count:     0
    .vgpr_spill_count: 0
    .wavefront_size: 32
    .workgroup_processor_mode: 1
  - .args:
      - .offset:         0
        .size:           88
        .value_kind:     by_value
    .group_segment_fixed_size: 0
    .kernarg_segment_align: 8
    .kernarg_segment_size: 88
    .language:       OpenCL C
    .language_version:
      - 2
      - 0
    .max_flat_workgroup_size: 256
    .name:           _ZN7rocprim17ROCPRIM_400000_NS6detail17trampoline_kernelINS0_14default_configENS1_22reduce_config_selectorI18summary_stats_dataIfEEEZNS1_11reduce_implILb1ES3_N6thrust23THRUST_200600_302600_NS11hip_rocprim26transform_input_iterator_tIS6_NSA_6detail15normal_iteratorINSA_10device_ptrIfEEEE22summary_stats_unary_opIfEEEPS6_S6_23summary_stats_binary_opIfEEE10hipError_tPvRmT1_T2_T3_mT4_P12ihipStream_tbEUlT_E0_NS1_11comp_targetILNS1_3genE2ELNS1_11target_archE906ELNS1_3gpuE6ELNS1_3repE0EEENS1_30default_config_static_selectorELNS0_4arch9wavefront6targetE0EEEvSR_
    .private_segment_fixed_size: 0
    .sgpr_count:     0
    .sgpr_spill_count: 0
    .symbol:         _ZN7rocprim17ROCPRIM_400000_NS6detail17trampoline_kernelINS0_14default_configENS1_22reduce_config_selectorI18summary_stats_dataIfEEEZNS1_11reduce_implILb1ES3_N6thrust23THRUST_200600_302600_NS11hip_rocprim26transform_input_iterator_tIS6_NSA_6detail15normal_iteratorINSA_10device_ptrIfEEEE22summary_stats_unary_opIfEEEPS6_S6_23summary_stats_binary_opIfEEE10hipError_tPvRmT1_T2_T3_mT4_P12ihipStream_tbEUlT_E0_NS1_11comp_targetILNS1_3genE2ELNS1_11target_archE906ELNS1_3gpuE6ELNS1_3repE0EEENS1_30default_config_static_selectorELNS0_4arch9wavefront6targetE0EEEvSR_.kd
    .uniform_work_group_size: 1
    .uses_dynamic_stack: false
    .vgpr_count:     0
    .vgpr_spill_count: 0
    .wavefront_size: 32
    .workgroup_processor_mode: 1
  - .args:
      - .offset:         0
        .size:           88
        .value_kind:     by_value
    .group_segment_fixed_size: 0
    .kernarg_segment_align: 8
    .kernarg_segment_size: 88
    .language:       OpenCL C
    .language_version:
      - 2
      - 0
    .max_flat_workgroup_size: 256
    .name:           _ZN7rocprim17ROCPRIM_400000_NS6detail17trampoline_kernelINS0_14default_configENS1_22reduce_config_selectorI18summary_stats_dataIfEEEZNS1_11reduce_implILb1ES3_N6thrust23THRUST_200600_302600_NS11hip_rocprim26transform_input_iterator_tIS6_NSA_6detail15normal_iteratorINSA_10device_ptrIfEEEE22summary_stats_unary_opIfEEEPS6_S6_23summary_stats_binary_opIfEEE10hipError_tPvRmT1_T2_T3_mT4_P12ihipStream_tbEUlT_E0_NS1_11comp_targetILNS1_3genE10ELNS1_11target_archE1201ELNS1_3gpuE5ELNS1_3repE0EEENS1_30default_config_static_selectorELNS0_4arch9wavefront6targetE0EEEvSR_
    .private_segment_fixed_size: 0
    .sgpr_count:     0
    .sgpr_spill_count: 0
    .symbol:         _ZN7rocprim17ROCPRIM_400000_NS6detail17trampoline_kernelINS0_14default_configENS1_22reduce_config_selectorI18summary_stats_dataIfEEEZNS1_11reduce_implILb1ES3_N6thrust23THRUST_200600_302600_NS11hip_rocprim26transform_input_iterator_tIS6_NSA_6detail15normal_iteratorINSA_10device_ptrIfEEEE22summary_stats_unary_opIfEEEPS6_S6_23summary_stats_binary_opIfEEE10hipError_tPvRmT1_T2_T3_mT4_P12ihipStream_tbEUlT_E0_NS1_11comp_targetILNS1_3genE10ELNS1_11target_archE1201ELNS1_3gpuE5ELNS1_3repE0EEENS1_30default_config_static_selectorELNS0_4arch9wavefront6targetE0EEEvSR_.kd
    .uniform_work_group_size: 1
    .uses_dynamic_stack: false
    .vgpr_count:     0
    .vgpr_spill_count: 0
    .wavefront_size: 32
    .workgroup_processor_mode: 1
  - .args:
      - .offset:         0
        .size:           88
        .value_kind:     by_value
    .group_segment_fixed_size: 0
    .kernarg_segment_align: 8
    .kernarg_segment_size: 88
    .language:       OpenCL C
    .language_version:
      - 2
      - 0
    .max_flat_workgroup_size: 256
    .name:           _ZN7rocprim17ROCPRIM_400000_NS6detail17trampoline_kernelINS0_14default_configENS1_22reduce_config_selectorI18summary_stats_dataIfEEEZNS1_11reduce_implILb1ES3_N6thrust23THRUST_200600_302600_NS11hip_rocprim26transform_input_iterator_tIS6_NSA_6detail15normal_iteratorINSA_10device_ptrIfEEEE22summary_stats_unary_opIfEEEPS6_S6_23summary_stats_binary_opIfEEE10hipError_tPvRmT1_T2_T3_mT4_P12ihipStream_tbEUlT_E0_NS1_11comp_targetILNS1_3genE10ELNS1_11target_archE1200ELNS1_3gpuE4ELNS1_3repE0EEENS1_30default_config_static_selectorELNS0_4arch9wavefront6targetE0EEEvSR_
    .private_segment_fixed_size: 0
    .sgpr_count:     0
    .sgpr_spill_count: 0
    .symbol:         _ZN7rocprim17ROCPRIM_400000_NS6detail17trampoline_kernelINS0_14default_configENS1_22reduce_config_selectorI18summary_stats_dataIfEEEZNS1_11reduce_implILb1ES3_N6thrust23THRUST_200600_302600_NS11hip_rocprim26transform_input_iterator_tIS6_NSA_6detail15normal_iteratorINSA_10device_ptrIfEEEE22summary_stats_unary_opIfEEEPS6_S6_23summary_stats_binary_opIfEEE10hipError_tPvRmT1_T2_T3_mT4_P12ihipStream_tbEUlT_E0_NS1_11comp_targetILNS1_3genE10ELNS1_11target_archE1200ELNS1_3gpuE4ELNS1_3repE0EEENS1_30default_config_static_selectorELNS0_4arch9wavefront6targetE0EEEvSR_.kd
    .uniform_work_group_size: 1
    .uses_dynamic_stack: false
    .vgpr_count:     0
    .vgpr_spill_count: 0
    .wavefront_size: 32
    .workgroup_processor_mode: 1
  - .args:
      - .offset:         0
        .size:           88
        .value_kind:     by_value
    .group_segment_fixed_size: 0
    .kernarg_segment_align: 8
    .kernarg_segment_size: 88
    .language:       OpenCL C
    .language_version:
      - 2
      - 0
    .max_flat_workgroup_size: 256
    .name:           _ZN7rocprim17ROCPRIM_400000_NS6detail17trampoline_kernelINS0_14default_configENS1_22reduce_config_selectorI18summary_stats_dataIfEEEZNS1_11reduce_implILb1ES3_N6thrust23THRUST_200600_302600_NS11hip_rocprim26transform_input_iterator_tIS6_NSA_6detail15normal_iteratorINSA_10device_ptrIfEEEE22summary_stats_unary_opIfEEEPS6_S6_23summary_stats_binary_opIfEEE10hipError_tPvRmT1_T2_T3_mT4_P12ihipStream_tbEUlT_E0_NS1_11comp_targetILNS1_3genE9ELNS1_11target_archE1100ELNS1_3gpuE3ELNS1_3repE0EEENS1_30default_config_static_selectorELNS0_4arch9wavefront6targetE0EEEvSR_
    .private_segment_fixed_size: 0
    .sgpr_count:     0
    .sgpr_spill_count: 0
    .symbol:         _ZN7rocprim17ROCPRIM_400000_NS6detail17trampoline_kernelINS0_14default_configENS1_22reduce_config_selectorI18summary_stats_dataIfEEEZNS1_11reduce_implILb1ES3_N6thrust23THRUST_200600_302600_NS11hip_rocprim26transform_input_iterator_tIS6_NSA_6detail15normal_iteratorINSA_10device_ptrIfEEEE22summary_stats_unary_opIfEEEPS6_S6_23summary_stats_binary_opIfEEE10hipError_tPvRmT1_T2_T3_mT4_P12ihipStream_tbEUlT_E0_NS1_11comp_targetILNS1_3genE9ELNS1_11target_archE1100ELNS1_3gpuE3ELNS1_3repE0EEENS1_30default_config_static_selectorELNS0_4arch9wavefront6targetE0EEEvSR_.kd
    .uniform_work_group_size: 1
    .uses_dynamic_stack: false
    .vgpr_count:     0
    .vgpr_spill_count: 0
    .wavefront_size: 32
    .workgroup_processor_mode: 1
  - .args:
      - .offset:         0
        .size:           88
        .value_kind:     by_value
    .group_segment_fixed_size: 448
    .kernarg_segment_align: 8
    .kernarg_segment_size: 88
    .language:       OpenCL C
    .language_version:
      - 2
      - 0
    .max_flat_workgroup_size: 256
    .name:           _ZN7rocprim17ROCPRIM_400000_NS6detail17trampoline_kernelINS0_14default_configENS1_22reduce_config_selectorI18summary_stats_dataIfEEEZNS1_11reduce_implILb1ES3_N6thrust23THRUST_200600_302600_NS11hip_rocprim26transform_input_iterator_tIS6_NSA_6detail15normal_iteratorINSA_10device_ptrIfEEEE22summary_stats_unary_opIfEEEPS6_S6_23summary_stats_binary_opIfEEE10hipError_tPvRmT1_T2_T3_mT4_P12ihipStream_tbEUlT_E0_NS1_11comp_targetILNS1_3genE8ELNS1_11target_archE1030ELNS1_3gpuE2ELNS1_3repE0EEENS1_30default_config_static_selectorELNS0_4arch9wavefront6targetE0EEEvSR_
    .private_segment_fixed_size: 0
    .sgpr_count:     30
    .sgpr_spill_count: 0
    .symbol:         _ZN7rocprim17ROCPRIM_400000_NS6detail17trampoline_kernelINS0_14default_configENS1_22reduce_config_selectorI18summary_stats_dataIfEEEZNS1_11reduce_implILb1ES3_N6thrust23THRUST_200600_302600_NS11hip_rocprim26transform_input_iterator_tIS6_NSA_6detail15normal_iteratorINSA_10device_ptrIfEEEE22summary_stats_unary_opIfEEEPS6_S6_23summary_stats_binary_opIfEEE10hipError_tPvRmT1_T2_T3_mT4_P12ihipStream_tbEUlT_E0_NS1_11comp_targetILNS1_3genE8ELNS1_11target_archE1030ELNS1_3gpuE2ELNS1_3repE0EEENS1_30default_config_static_selectorELNS0_4arch9wavefront6targetE0EEEvSR_.kd
    .uniform_work_group_size: 1
    .uses_dynamic_stack: false
    .vgpr_count:     63
    .vgpr_spill_count: 0
    .wavefront_size: 32
    .workgroup_processor_mode: 1
  - .args:
      - .offset:         0
        .size:           72
        .value_kind:     by_value
    .group_segment_fixed_size: 0
    .kernarg_segment_align: 8
    .kernarg_segment_size: 72
    .language:       OpenCL C
    .language_version:
      - 2
      - 0
    .max_flat_workgroup_size: 256
    .name:           _ZN7rocprim17ROCPRIM_400000_NS6detail17trampoline_kernelINS0_14default_configENS1_22reduce_config_selectorI18summary_stats_dataIfEEEZNS1_11reduce_implILb1ES3_N6thrust23THRUST_200600_302600_NS11hip_rocprim26transform_input_iterator_tIS6_NSA_6detail15normal_iteratorINSA_10device_ptrIfEEEE22summary_stats_unary_opIfEEEPS6_S6_23summary_stats_binary_opIfEEE10hipError_tPvRmT1_T2_T3_mT4_P12ihipStream_tbEUlT_E1_NS1_11comp_targetILNS1_3genE0ELNS1_11target_archE4294967295ELNS1_3gpuE0ELNS1_3repE0EEENS1_30default_config_static_selectorELNS0_4arch9wavefront6targetE0EEEvSR_
    .private_segment_fixed_size: 0
    .sgpr_count:     0
    .sgpr_spill_count: 0
    .symbol:         _ZN7rocprim17ROCPRIM_400000_NS6detail17trampoline_kernelINS0_14default_configENS1_22reduce_config_selectorI18summary_stats_dataIfEEEZNS1_11reduce_implILb1ES3_N6thrust23THRUST_200600_302600_NS11hip_rocprim26transform_input_iterator_tIS6_NSA_6detail15normal_iteratorINSA_10device_ptrIfEEEE22summary_stats_unary_opIfEEEPS6_S6_23summary_stats_binary_opIfEEE10hipError_tPvRmT1_T2_T3_mT4_P12ihipStream_tbEUlT_E1_NS1_11comp_targetILNS1_3genE0ELNS1_11target_archE4294967295ELNS1_3gpuE0ELNS1_3repE0EEENS1_30default_config_static_selectorELNS0_4arch9wavefront6targetE0EEEvSR_.kd
    .uniform_work_group_size: 1
    .uses_dynamic_stack: false
    .vgpr_count:     0
    .vgpr_spill_count: 0
    .wavefront_size: 32
    .workgroup_processor_mode: 1
  - .args:
      - .offset:         0
        .size:           72
        .value_kind:     by_value
    .group_segment_fixed_size: 0
    .kernarg_segment_align: 8
    .kernarg_segment_size: 72
    .language:       OpenCL C
    .language_version:
      - 2
      - 0
    .max_flat_workgroup_size: 256
    .name:           _ZN7rocprim17ROCPRIM_400000_NS6detail17trampoline_kernelINS0_14default_configENS1_22reduce_config_selectorI18summary_stats_dataIfEEEZNS1_11reduce_implILb1ES3_N6thrust23THRUST_200600_302600_NS11hip_rocprim26transform_input_iterator_tIS6_NSA_6detail15normal_iteratorINSA_10device_ptrIfEEEE22summary_stats_unary_opIfEEEPS6_S6_23summary_stats_binary_opIfEEE10hipError_tPvRmT1_T2_T3_mT4_P12ihipStream_tbEUlT_E1_NS1_11comp_targetILNS1_3genE5ELNS1_11target_archE942ELNS1_3gpuE9ELNS1_3repE0EEENS1_30default_config_static_selectorELNS0_4arch9wavefront6targetE0EEEvSR_
    .private_segment_fixed_size: 0
    .sgpr_count:     0
    .sgpr_spill_count: 0
    .symbol:         _ZN7rocprim17ROCPRIM_400000_NS6detail17trampoline_kernelINS0_14default_configENS1_22reduce_config_selectorI18summary_stats_dataIfEEEZNS1_11reduce_implILb1ES3_N6thrust23THRUST_200600_302600_NS11hip_rocprim26transform_input_iterator_tIS6_NSA_6detail15normal_iteratorINSA_10device_ptrIfEEEE22summary_stats_unary_opIfEEEPS6_S6_23summary_stats_binary_opIfEEE10hipError_tPvRmT1_T2_T3_mT4_P12ihipStream_tbEUlT_E1_NS1_11comp_targetILNS1_3genE5ELNS1_11target_archE942ELNS1_3gpuE9ELNS1_3repE0EEENS1_30default_config_static_selectorELNS0_4arch9wavefront6targetE0EEEvSR_.kd
    .uniform_work_group_size: 1
    .uses_dynamic_stack: false
    .vgpr_count:     0
    .vgpr_spill_count: 0
    .wavefront_size: 32
    .workgroup_processor_mode: 1
  - .args:
      - .offset:         0
        .size:           72
        .value_kind:     by_value
    .group_segment_fixed_size: 0
    .kernarg_segment_align: 8
    .kernarg_segment_size: 72
    .language:       OpenCL C
    .language_version:
      - 2
      - 0
    .max_flat_workgroup_size: 256
    .name:           _ZN7rocprim17ROCPRIM_400000_NS6detail17trampoline_kernelINS0_14default_configENS1_22reduce_config_selectorI18summary_stats_dataIfEEEZNS1_11reduce_implILb1ES3_N6thrust23THRUST_200600_302600_NS11hip_rocprim26transform_input_iterator_tIS6_NSA_6detail15normal_iteratorINSA_10device_ptrIfEEEE22summary_stats_unary_opIfEEEPS6_S6_23summary_stats_binary_opIfEEE10hipError_tPvRmT1_T2_T3_mT4_P12ihipStream_tbEUlT_E1_NS1_11comp_targetILNS1_3genE4ELNS1_11target_archE910ELNS1_3gpuE8ELNS1_3repE0EEENS1_30default_config_static_selectorELNS0_4arch9wavefront6targetE0EEEvSR_
    .private_segment_fixed_size: 0
    .sgpr_count:     0
    .sgpr_spill_count: 0
    .symbol:         _ZN7rocprim17ROCPRIM_400000_NS6detail17trampoline_kernelINS0_14default_configENS1_22reduce_config_selectorI18summary_stats_dataIfEEEZNS1_11reduce_implILb1ES3_N6thrust23THRUST_200600_302600_NS11hip_rocprim26transform_input_iterator_tIS6_NSA_6detail15normal_iteratorINSA_10device_ptrIfEEEE22summary_stats_unary_opIfEEEPS6_S6_23summary_stats_binary_opIfEEE10hipError_tPvRmT1_T2_T3_mT4_P12ihipStream_tbEUlT_E1_NS1_11comp_targetILNS1_3genE4ELNS1_11target_archE910ELNS1_3gpuE8ELNS1_3repE0EEENS1_30default_config_static_selectorELNS0_4arch9wavefront6targetE0EEEvSR_.kd
    .uniform_work_group_size: 1
    .uses_dynamic_stack: false
    .vgpr_count:     0
    .vgpr_spill_count: 0
    .wavefront_size: 32
    .workgroup_processor_mode: 1
  - .args:
      - .offset:         0
        .size:           72
        .value_kind:     by_value
    .group_segment_fixed_size: 0
    .kernarg_segment_align: 8
    .kernarg_segment_size: 72
    .language:       OpenCL C
    .language_version:
      - 2
      - 0
    .max_flat_workgroup_size: 256
    .name:           _ZN7rocprim17ROCPRIM_400000_NS6detail17trampoline_kernelINS0_14default_configENS1_22reduce_config_selectorI18summary_stats_dataIfEEEZNS1_11reduce_implILb1ES3_N6thrust23THRUST_200600_302600_NS11hip_rocprim26transform_input_iterator_tIS6_NSA_6detail15normal_iteratorINSA_10device_ptrIfEEEE22summary_stats_unary_opIfEEEPS6_S6_23summary_stats_binary_opIfEEE10hipError_tPvRmT1_T2_T3_mT4_P12ihipStream_tbEUlT_E1_NS1_11comp_targetILNS1_3genE3ELNS1_11target_archE908ELNS1_3gpuE7ELNS1_3repE0EEENS1_30default_config_static_selectorELNS0_4arch9wavefront6targetE0EEEvSR_
    .private_segment_fixed_size: 0
    .sgpr_count:     0
    .sgpr_spill_count: 0
    .symbol:         _ZN7rocprim17ROCPRIM_400000_NS6detail17trampoline_kernelINS0_14default_configENS1_22reduce_config_selectorI18summary_stats_dataIfEEEZNS1_11reduce_implILb1ES3_N6thrust23THRUST_200600_302600_NS11hip_rocprim26transform_input_iterator_tIS6_NSA_6detail15normal_iteratorINSA_10device_ptrIfEEEE22summary_stats_unary_opIfEEEPS6_S6_23summary_stats_binary_opIfEEE10hipError_tPvRmT1_T2_T3_mT4_P12ihipStream_tbEUlT_E1_NS1_11comp_targetILNS1_3genE3ELNS1_11target_archE908ELNS1_3gpuE7ELNS1_3repE0EEENS1_30default_config_static_selectorELNS0_4arch9wavefront6targetE0EEEvSR_.kd
    .uniform_work_group_size: 1
    .uses_dynamic_stack: false
    .vgpr_count:     0
    .vgpr_spill_count: 0
    .wavefront_size: 32
    .workgroup_processor_mode: 1
  - .args:
      - .offset:         0
        .size:           72
        .value_kind:     by_value
    .group_segment_fixed_size: 0
    .kernarg_segment_align: 8
    .kernarg_segment_size: 72
    .language:       OpenCL C
    .language_version:
      - 2
      - 0
    .max_flat_workgroup_size: 256
    .name:           _ZN7rocprim17ROCPRIM_400000_NS6detail17trampoline_kernelINS0_14default_configENS1_22reduce_config_selectorI18summary_stats_dataIfEEEZNS1_11reduce_implILb1ES3_N6thrust23THRUST_200600_302600_NS11hip_rocprim26transform_input_iterator_tIS6_NSA_6detail15normal_iteratorINSA_10device_ptrIfEEEE22summary_stats_unary_opIfEEEPS6_S6_23summary_stats_binary_opIfEEE10hipError_tPvRmT1_T2_T3_mT4_P12ihipStream_tbEUlT_E1_NS1_11comp_targetILNS1_3genE2ELNS1_11target_archE906ELNS1_3gpuE6ELNS1_3repE0EEENS1_30default_config_static_selectorELNS0_4arch9wavefront6targetE0EEEvSR_
    .private_segment_fixed_size: 0
    .sgpr_count:     0
    .sgpr_spill_count: 0
    .symbol:         _ZN7rocprim17ROCPRIM_400000_NS6detail17trampoline_kernelINS0_14default_configENS1_22reduce_config_selectorI18summary_stats_dataIfEEEZNS1_11reduce_implILb1ES3_N6thrust23THRUST_200600_302600_NS11hip_rocprim26transform_input_iterator_tIS6_NSA_6detail15normal_iteratorINSA_10device_ptrIfEEEE22summary_stats_unary_opIfEEEPS6_S6_23summary_stats_binary_opIfEEE10hipError_tPvRmT1_T2_T3_mT4_P12ihipStream_tbEUlT_E1_NS1_11comp_targetILNS1_3genE2ELNS1_11target_archE906ELNS1_3gpuE6ELNS1_3repE0EEENS1_30default_config_static_selectorELNS0_4arch9wavefront6targetE0EEEvSR_.kd
    .uniform_work_group_size: 1
    .uses_dynamic_stack: false
    .vgpr_count:     0
    .vgpr_spill_count: 0
    .wavefront_size: 32
    .workgroup_processor_mode: 1
  - .args:
      - .offset:         0
        .size:           72
        .value_kind:     by_value
    .group_segment_fixed_size: 0
    .kernarg_segment_align: 8
    .kernarg_segment_size: 72
    .language:       OpenCL C
    .language_version:
      - 2
      - 0
    .max_flat_workgroup_size: 256
    .name:           _ZN7rocprim17ROCPRIM_400000_NS6detail17trampoline_kernelINS0_14default_configENS1_22reduce_config_selectorI18summary_stats_dataIfEEEZNS1_11reduce_implILb1ES3_N6thrust23THRUST_200600_302600_NS11hip_rocprim26transform_input_iterator_tIS6_NSA_6detail15normal_iteratorINSA_10device_ptrIfEEEE22summary_stats_unary_opIfEEEPS6_S6_23summary_stats_binary_opIfEEE10hipError_tPvRmT1_T2_T3_mT4_P12ihipStream_tbEUlT_E1_NS1_11comp_targetILNS1_3genE10ELNS1_11target_archE1201ELNS1_3gpuE5ELNS1_3repE0EEENS1_30default_config_static_selectorELNS0_4arch9wavefront6targetE0EEEvSR_
    .private_segment_fixed_size: 0
    .sgpr_count:     0
    .sgpr_spill_count: 0
    .symbol:         _ZN7rocprim17ROCPRIM_400000_NS6detail17trampoline_kernelINS0_14default_configENS1_22reduce_config_selectorI18summary_stats_dataIfEEEZNS1_11reduce_implILb1ES3_N6thrust23THRUST_200600_302600_NS11hip_rocprim26transform_input_iterator_tIS6_NSA_6detail15normal_iteratorINSA_10device_ptrIfEEEE22summary_stats_unary_opIfEEEPS6_S6_23summary_stats_binary_opIfEEE10hipError_tPvRmT1_T2_T3_mT4_P12ihipStream_tbEUlT_E1_NS1_11comp_targetILNS1_3genE10ELNS1_11target_archE1201ELNS1_3gpuE5ELNS1_3repE0EEENS1_30default_config_static_selectorELNS0_4arch9wavefront6targetE0EEEvSR_.kd
    .uniform_work_group_size: 1
    .uses_dynamic_stack: false
    .vgpr_count:     0
    .vgpr_spill_count: 0
    .wavefront_size: 32
    .workgroup_processor_mode: 1
  - .args:
      - .offset:         0
        .size:           72
        .value_kind:     by_value
    .group_segment_fixed_size: 0
    .kernarg_segment_align: 8
    .kernarg_segment_size: 72
    .language:       OpenCL C
    .language_version:
      - 2
      - 0
    .max_flat_workgroup_size: 256
    .name:           _ZN7rocprim17ROCPRIM_400000_NS6detail17trampoline_kernelINS0_14default_configENS1_22reduce_config_selectorI18summary_stats_dataIfEEEZNS1_11reduce_implILb1ES3_N6thrust23THRUST_200600_302600_NS11hip_rocprim26transform_input_iterator_tIS6_NSA_6detail15normal_iteratorINSA_10device_ptrIfEEEE22summary_stats_unary_opIfEEEPS6_S6_23summary_stats_binary_opIfEEE10hipError_tPvRmT1_T2_T3_mT4_P12ihipStream_tbEUlT_E1_NS1_11comp_targetILNS1_3genE10ELNS1_11target_archE1200ELNS1_3gpuE4ELNS1_3repE0EEENS1_30default_config_static_selectorELNS0_4arch9wavefront6targetE0EEEvSR_
    .private_segment_fixed_size: 0
    .sgpr_count:     0
    .sgpr_spill_count: 0
    .symbol:         _ZN7rocprim17ROCPRIM_400000_NS6detail17trampoline_kernelINS0_14default_configENS1_22reduce_config_selectorI18summary_stats_dataIfEEEZNS1_11reduce_implILb1ES3_N6thrust23THRUST_200600_302600_NS11hip_rocprim26transform_input_iterator_tIS6_NSA_6detail15normal_iteratorINSA_10device_ptrIfEEEE22summary_stats_unary_opIfEEEPS6_S6_23summary_stats_binary_opIfEEE10hipError_tPvRmT1_T2_T3_mT4_P12ihipStream_tbEUlT_E1_NS1_11comp_targetILNS1_3genE10ELNS1_11target_archE1200ELNS1_3gpuE4ELNS1_3repE0EEENS1_30default_config_static_selectorELNS0_4arch9wavefront6targetE0EEEvSR_.kd
    .uniform_work_group_size: 1
    .uses_dynamic_stack: false
    .vgpr_count:     0
    .vgpr_spill_count: 0
    .wavefront_size: 32
    .workgroup_processor_mode: 1
  - .args:
      - .offset:         0
        .size:           72
        .value_kind:     by_value
    .group_segment_fixed_size: 0
    .kernarg_segment_align: 8
    .kernarg_segment_size: 72
    .language:       OpenCL C
    .language_version:
      - 2
      - 0
    .max_flat_workgroup_size: 256
    .name:           _ZN7rocprim17ROCPRIM_400000_NS6detail17trampoline_kernelINS0_14default_configENS1_22reduce_config_selectorI18summary_stats_dataIfEEEZNS1_11reduce_implILb1ES3_N6thrust23THRUST_200600_302600_NS11hip_rocprim26transform_input_iterator_tIS6_NSA_6detail15normal_iteratorINSA_10device_ptrIfEEEE22summary_stats_unary_opIfEEEPS6_S6_23summary_stats_binary_opIfEEE10hipError_tPvRmT1_T2_T3_mT4_P12ihipStream_tbEUlT_E1_NS1_11comp_targetILNS1_3genE9ELNS1_11target_archE1100ELNS1_3gpuE3ELNS1_3repE0EEENS1_30default_config_static_selectorELNS0_4arch9wavefront6targetE0EEEvSR_
    .private_segment_fixed_size: 0
    .sgpr_count:     0
    .sgpr_spill_count: 0
    .symbol:         _ZN7rocprim17ROCPRIM_400000_NS6detail17trampoline_kernelINS0_14default_configENS1_22reduce_config_selectorI18summary_stats_dataIfEEEZNS1_11reduce_implILb1ES3_N6thrust23THRUST_200600_302600_NS11hip_rocprim26transform_input_iterator_tIS6_NSA_6detail15normal_iteratorINSA_10device_ptrIfEEEE22summary_stats_unary_opIfEEEPS6_S6_23summary_stats_binary_opIfEEE10hipError_tPvRmT1_T2_T3_mT4_P12ihipStream_tbEUlT_E1_NS1_11comp_targetILNS1_3genE9ELNS1_11target_archE1100ELNS1_3gpuE3ELNS1_3repE0EEENS1_30default_config_static_selectorELNS0_4arch9wavefront6targetE0EEEvSR_.kd
    .uniform_work_group_size: 1
    .uses_dynamic_stack: false
    .vgpr_count:     0
    .vgpr_spill_count: 0
    .wavefront_size: 32
    .workgroup_processor_mode: 1
  - .args:
      - .offset:         0
        .size:           72
        .value_kind:     by_value
    .group_segment_fixed_size: 896
    .kernarg_segment_align: 8
    .kernarg_segment_size: 72
    .language:       OpenCL C
    .language_version:
      - 2
      - 0
    .max_flat_workgroup_size: 256
    .name:           _ZN7rocprim17ROCPRIM_400000_NS6detail17trampoline_kernelINS0_14default_configENS1_22reduce_config_selectorI18summary_stats_dataIfEEEZNS1_11reduce_implILb1ES3_N6thrust23THRUST_200600_302600_NS11hip_rocprim26transform_input_iterator_tIS6_NSA_6detail15normal_iteratorINSA_10device_ptrIfEEEE22summary_stats_unary_opIfEEEPS6_S6_23summary_stats_binary_opIfEEE10hipError_tPvRmT1_T2_T3_mT4_P12ihipStream_tbEUlT_E1_NS1_11comp_targetILNS1_3genE8ELNS1_11target_archE1030ELNS1_3gpuE2ELNS1_3repE0EEENS1_30default_config_static_selectorELNS0_4arch9wavefront6targetE0EEEvSR_
    .private_segment_fixed_size: 0
    .sgpr_count:     30
    .sgpr_spill_count: 0
    .symbol:         _ZN7rocprim17ROCPRIM_400000_NS6detail17trampoline_kernelINS0_14default_configENS1_22reduce_config_selectorI18summary_stats_dataIfEEEZNS1_11reduce_implILb1ES3_N6thrust23THRUST_200600_302600_NS11hip_rocprim26transform_input_iterator_tIS6_NSA_6detail15normal_iteratorINSA_10device_ptrIfEEEE22summary_stats_unary_opIfEEEPS6_S6_23summary_stats_binary_opIfEEE10hipError_tPvRmT1_T2_T3_mT4_P12ihipStream_tbEUlT_E1_NS1_11comp_targetILNS1_3genE8ELNS1_11target_archE1030ELNS1_3gpuE2ELNS1_3repE0EEENS1_30default_config_static_selectorELNS0_4arch9wavefront6targetE0EEEvSR_.kd
    .uniform_work_group_size: 1
    .uses_dynamic_stack: false
    .vgpr_count:     62
    .vgpr_spill_count: 0
    .wavefront_size: 32
    .workgroup_processor_mode: 1
  - .args:
      - .offset:         0
        .size:           16
        .value_kind:     by_value
      - .offset:         16
        .size:           8
        .value_kind:     by_value
      - .offset:         24
        .size:           8
        .value_kind:     by_value
    .group_segment_fixed_size: 0
    .kernarg_segment_align: 8
    .kernarg_segment_size: 32
    .language:       OpenCL C
    .language_version:
      - 2
      - 0
    .max_flat_workgroup_size: 256
    .name:           _ZN6thrust23THRUST_200600_302600_NS11hip_rocprim14__parallel_for6kernelILj256ENS1_20__uninitialized_copy7functorINS0_6detail15normal_iteratorINS0_10device_ptrIfEEEENS0_7pointerIfNS1_3tagENS0_11use_defaultESD_EEEEmLj1EEEvT0_T1_SH_
    .private_segment_fixed_size: 0
    .sgpr_count:     18
    .sgpr_spill_count: 0
    .symbol:         _ZN6thrust23THRUST_200600_302600_NS11hip_rocprim14__parallel_for6kernelILj256ENS1_20__uninitialized_copy7functorINS0_6detail15normal_iteratorINS0_10device_ptrIfEEEENS0_7pointerIfNS1_3tagENS0_11use_defaultESD_EEEEmLj1EEEvT0_T1_SH_.kd
    .uniform_work_group_size: 1
    .uses_dynamic_stack: false
    .vgpr_count:     5
    .vgpr_spill_count: 0
    .wavefront_size: 32
    .workgroup_processor_mode: 1
amdhsa.target:   amdgcn-amd-amdhsa--gfx1030
amdhsa.version:
  - 1
  - 2
...

	.end_amdgpu_metadata
